;; amdgpu-corpus repo=ROCm/rocFFT kind=compiled arch=gfx1030 opt=O3
	.text
	.amdgcn_target "amdgcn-amd-amdhsa--gfx1030"
	.amdhsa_code_object_version 6
	.protected	bluestein_single_back_len210_dim1_half_op_CI_CI ; -- Begin function bluestein_single_back_len210_dim1_half_op_CI_CI
	.globl	bluestein_single_back_len210_dim1_half_op_CI_CI
	.p2align	8
	.type	bluestein_single_back_len210_dim1_half_op_CI_CI,@function
bluestein_single_back_len210_dim1_half_op_CI_CI: ; @bluestein_single_back_len210_dim1_half_op_CI_CI
; %bb.0:
	s_load_dwordx4 s[0:3], s[4:5], 0x28
	v_mul_u32_u24_e32 v1, 0x889, v0
	v_mov_b32_e32 v5, 0
	v_lshrrev_b32_e32 v1, 16, v1
	v_lshl_add_u32 v4, s6, 1, v1
	s_waitcnt lgkmcnt(0)
	v_cmp_gt_u64_e32 vcc_lo, s[0:1], v[4:5]
	s_and_saveexec_b32 s0, vcc_lo
	s_cbranch_execz .LBB0_23
; %bb.1:
	v_mul_lo_u16 v2, v1, 30
	s_clause 0x1
	s_load_dwordx2 s[10:11], s[4:5], 0x0
	s_load_dwordx2 s[8:9], s[4:5], 0x38
	v_and_b32_e32 v1, 1, v1
	v_sub_nc_u16 v0, v0, v2
	v_cmp_eq_u32_e32 vcc_lo, 1, v1
	v_and_b32_e32 v24, 0xffff, v0
	v_cndmask_b32_e64 v25, 0, 0xd2, vcc_lo
	v_cmp_gt_u16_e32 vcc_lo, 21, v0
	v_lshlrev_b32_e32 v23, 2, v24
	v_lshlrev_b32_e32 v26, 2, v25
	s_and_saveexec_b32 s1, vcc_lo
	s_cbranch_execz .LBB0_3
; %bb.2:
	s_load_dwordx2 s[6:7], s[4:5], 0x18
	v_lshl_add_u32 v27, v24, 2, v26
	v_add_nc_u32_e32 v30, v26, v23
	s_waitcnt lgkmcnt(0)
	s_load_dwordx4 s[12:15], s[6:7], 0x0
	s_waitcnt lgkmcnt(0)
	v_mad_u64_u32 v[0:1], null, s14, v4, 0
	v_mad_u64_u32 v[2:3], null, s12, v24, 0
	s_mul_i32 s6, s13, 0x54
	s_mul_hi_u32 s7, s12, 0x54
	s_add_i32 s7, s7, s6
	v_mad_u64_u32 v[5:6], null, s15, v4, v[1:2]
	v_mad_u64_u32 v[6:7], null, s13, v24, v[3:4]
	v_mov_b32_e32 v1, v5
	v_mov_b32_e32 v3, v6
	v_lshlrev_b64 v[0:1], 2, v[0:1]
	v_lshlrev_b64 v[2:3], 2, v[2:3]
	v_add_co_u32 v0, s0, s2, v0
	v_add_co_ci_u32_e64 v1, s0, s3, v1, s0
	s_mul_i32 s2, s12, 0x54
	v_add_co_u32 v0, s0, v0, v2
	v_add_co_ci_u32_e64 v1, s0, v1, v3, s0
	v_add_co_u32 v2, s0, v0, s2
	v_add_co_ci_u32_e64 v3, s0, s7, v1, s0
	;; [unrolled: 2-line block ×3, first 2 shown]
	global_load_dword v7, v[0:1], off
	global_load_dword v8, v23, s[10:11]
	s_clause 0x1
	global_load_dword v9, v[2:3], off
	global_load_dword v10, v[5:6], off
	v_add_co_u32 v0, s0, v5, s2
	v_add_co_ci_u32_e64 v1, s0, s7, v6, s0
	s_clause 0x5
	global_load_dword v11, v23, s[10:11] offset:84
	global_load_dword v12, v23, s[10:11] offset:168
	;; [unrolled: 1-line block ×6, first 2 shown]
	v_add_co_u32 v2, s0, v0, s2
	v_add_co_ci_u32_e64 v3, s0, s7, v1, s0
	s_clause 0x1
	global_load_dword v17, v[0:1], off
	global_load_dword v18, v[2:3], off
	v_add_co_u32 v0, s0, v2, s2
	v_add_co_ci_u32_e64 v1, s0, s7, v3, s0
	v_add_co_u32 v2, s0, v0, s2
	v_add_co_ci_u32_e64 v3, s0, s7, v1, s0
	global_load_dword v19, v[0:1], off
	v_add_co_u32 v0, s0, v2, s2
	global_load_dword v20, v[2:3], off
	v_add_co_ci_u32_e64 v1, s0, s7, v3, s0
	v_add_co_u32 v2, s0, v0, s2
	v_add_co_ci_u32_e64 v3, s0, s7, v1, s0
	v_add_co_u32 v5, s0, v2, s2
	v_add_co_ci_u32_e64 v6, s0, s7, v3, s0
	global_load_dword v0, v[0:1], off
	global_load_dword v1, v23, s[10:11] offset:588
	global_load_dword v2, v[2:3], off
	global_load_dword v3, v[5:6], off
	s_clause 0x1
	global_load_dword v5, v23, s[10:11] offset:672
	global_load_dword v6, v23, s[10:11] offset:756
	s_waitcnt vmcnt(19)
	v_lshrrev_b32_e32 v21, 16, v7
	s_waitcnt vmcnt(18)
	v_mul_f16_sdwa v22, v8, v7 dst_sel:DWORD dst_unused:UNUSED_PAD src0_sel:WORD_1 src1_sel:DWORD
	s_waitcnt vmcnt(17)
	v_lshrrev_b32_e32 v29, 16, v9
	s_waitcnt vmcnt(14)
	v_mul_f16_sdwa v31, v12, v10 dst_sel:DWORD dst_unused:UNUSED_PAD src0_sel:WORD_1 src1_sel:DWORD
	v_mul_f16_sdwa v28, v8, v21 dst_sel:DWORD dst_unused:UNUSED_PAD src0_sel:WORD_1 src1_sel:DWORD
	v_fma_f16 v21, v8, v21, -v22
	v_mul_f16_sdwa v22, v11, v9 dst_sel:DWORD dst_unused:UNUSED_PAD src0_sel:WORD_1 src1_sel:DWORD
	v_fmac_f16_e32 v28, v8, v7
	v_mul_f16_sdwa v7, v11, v29 dst_sel:DWORD dst_unused:UNUSED_PAD src0_sel:WORD_1 src1_sel:DWORD
	v_lshrrev_b32_e32 v8, 16, v10
	v_fma_f16 v22, v11, v29, -v22
	v_pack_b32_f16 v21, v28, v21
	v_fmac_f16_e32 v7, v11, v9
	v_mul_f16_sdwa v9, v12, v8 dst_sel:DWORD dst_unused:UNUSED_PAD src0_sel:WORD_1 src1_sel:DWORD
	s_waitcnt vmcnt(9)
	v_lshrrev_b32_e32 v11, 16, v17
	v_fma_f16 v8, v12, v8, -v31
	v_mul_f16_sdwa v28, v13, v17 dst_sel:DWORD dst_unused:UNUSED_PAD src0_sel:WORD_1 src1_sel:DWORD
	ds_write_b32 v27, v21
	v_fmac_f16_e32 v9, v12, v10
	v_mul_f16_sdwa v10, v13, v11 dst_sel:DWORD dst_unused:UNUSED_PAD src0_sel:WORD_1 src1_sel:DWORD
	s_waitcnt vmcnt(8)
	v_lshrrev_b32_e32 v12, 16, v18
	v_mul_f16_sdwa v21, v14, v18 dst_sel:DWORD dst_unused:UNUSED_PAD src0_sel:WORD_1 src1_sel:DWORD
	v_fma_f16 v11, v13, v11, -v28
	v_pack_b32_f16 v8, v9, v8
	v_fmac_f16_e32 v10, v13, v17
	v_mul_f16_sdwa v9, v14, v12 dst_sel:DWORD dst_unused:UNUSED_PAD src0_sel:WORD_1 src1_sel:DWORD
	v_fma_f16 v12, v14, v12, -v21
	s_waitcnt vmcnt(7)
	v_lshrrev_b32_e32 v13, 16, v19
	v_mul_f16_sdwa v17, v15, v19 dst_sel:DWORD dst_unused:UNUSED_PAD src0_sel:WORD_1 src1_sel:DWORD
	v_pack_b32_f16 v10, v10, v11
	v_fmac_f16_e32 v9, v14, v18
	s_waitcnt vmcnt(6)
	v_lshrrev_b32_e32 v11, 16, v20
	v_mul_f16_sdwa v14, v15, v13 dst_sel:DWORD dst_unused:UNUSED_PAD src0_sel:WORD_1 src1_sel:DWORD
	v_mul_f16_sdwa v18, v16, v20 dst_sel:DWORD dst_unused:UNUSED_PAD src0_sel:WORD_1 src1_sel:DWORD
	v_fma_f16 v13, v15, v13, -v17
	v_pack_b32_f16 v9, v9, v12
	v_mul_f16_sdwa v12, v16, v11 dst_sel:DWORD dst_unused:UNUSED_PAD src0_sel:WORD_1 src1_sel:DWORD
	v_fmac_f16_e32 v14, v15, v19
	v_fma_f16 v11, v16, v11, -v18
	s_waitcnt vmcnt(5)
	v_lshrrev_b32_e32 v15, 16, v0
	s_waitcnt vmcnt(4)
	v_mul_f16_sdwa v17, v1, v0 dst_sel:DWORD dst_unused:UNUSED_PAD src0_sel:WORD_1 src1_sel:DWORD
	v_fmac_f16_e32 v12, v16, v20
	s_waitcnt vmcnt(3)
	v_lshrrev_b32_e32 v16, 16, v2
	s_waitcnt vmcnt(2)
	v_lshrrev_b32_e32 v18, 16, v3
	v_mul_f16_sdwa v19, v1, v15 dst_sel:DWORD dst_unused:UNUSED_PAD src0_sel:WORD_1 src1_sel:DWORD
	v_fma_f16 v15, v1, v15, -v17
	s_waitcnt vmcnt(1)
	v_mul_f16_sdwa v17, v5, v2 dst_sel:DWORD dst_unused:UNUSED_PAD src0_sel:WORD_1 src1_sel:DWORD
	v_mul_f16_sdwa v20, v5, v16 dst_sel:DWORD dst_unused:UNUSED_PAD src0_sel:WORD_1 src1_sel:DWORD
	v_pack_b32_f16 v7, v7, v22
	s_waitcnt vmcnt(0)
	v_mul_f16_sdwa v21, v6, v18 dst_sel:DWORD dst_unused:UNUSED_PAD src0_sel:WORD_1 src1_sel:DWORD
	v_mul_f16_sdwa v22, v6, v3 dst_sel:DWORD dst_unused:UNUSED_PAD src0_sel:WORD_1 src1_sel:DWORD
	v_fmac_f16_e32 v19, v1, v0
	v_fma_f16 v0, v5, v16, -v17
	v_fmac_f16_e32 v20, v5, v2
	v_fmac_f16_e32 v21, v6, v3
	v_fma_f16 v1, v6, v18, -v22
	v_pack_b32_f16 v2, v14, v13
	v_pack_b32_f16 v3, v12, v11
	;; [unrolled: 1-line block ×5, first 2 shown]
	ds_write2_b32 v30, v7, v8 offset0:21 offset1:42
	ds_write2_b32 v30, v10, v9 offset0:63 offset1:84
	;; [unrolled: 1-line block ×4, first 2 shown]
	ds_write_b32 v30, v1 offset:756
.LBB0_3:
	s_or_b32 exec_lo, exec_lo, s1
	s_clause 0x1
	s_load_dwordx2 s[0:1], s[4:5], 0x20
	s_load_dwordx2 s[2:3], s[4:5], 0x8
	s_waitcnt lgkmcnt(0)
	s_barrier
	buffer_gl0_inv
                                        ; implicit-def: $vgpr1
                                        ; implicit-def: $vgpr3
                                        ; implicit-def: $vgpr8
                                        ; implicit-def: $vgpr12
                                        ; implicit-def: $vgpr10
	s_and_saveexec_b32 s4, vcc_lo
	s_cbranch_execz .LBB0_5
; %bb.4:
	v_lshl_add_u32 v0, v25, 2, v23
	ds_read2_b32 v[9:10], v0 offset1:21
	ds_read2_b32 v[11:12], v0 offset0:42 offset1:63
	ds_read2_b32 v[7:8], v0 offset0:84 offset1:105
	;; [unrolled: 1-line block ×4, first 2 shown]
.LBB0_5:
	s_or_b32 exec_lo, exec_lo, s4
	s_waitcnt lgkmcnt(1)
	v_add_f16_e32 v5, v2, v7
	s_waitcnt lgkmcnt(0)
	v_add_f16_e32 v13, v0, v11
	v_sub_f16_sdwa v19, v7, v2 dst_sel:DWORD dst_unused:UNUSED_PAD src0_sel:WORD_1 src1_sel:WORD_1
	v_sub_f16_e32 v6, v11, v7
	v_sub_f16_e32 v14, v0, v2
	v_fma_f16 v16, -0.5, v5, v9
	v_fma_f16 v5, -0.5, v13, v9
	v_sub_f16_sdwa v20, v11, v0 dst_sel:DWORD dst_unused:UNUSED_PAD src0_sel:WORD_1 src1_sel:WORD_1
	v_sub_f16_e32 v17, v7, v11
	v_sub_f16_e32 v18, v2, v0
	v_add_f16_sdwa v21, v2, v7 dst_sel:DWORD dst_unused:UNUSED_PAD src0_sel:WORD_1 src1_sel:WORD_1
	v_lshrrev_b32_e32 v15, 16, v9
	v_add_f16_e32 v28, v14, v6
	v_fmamk_f16 v14, v19, 0xbb9c, v5
	v_add_f16_sdwa v6, v0, v11 dst_sel:DWORD dst_unused:UNUSED_PAD src0_sel:WORD_1 src1_sel:WORD_1
	v_fmac_f16_e32 v5, 0x3b9c, v19
	v_add_f16_e32 v22, v18, v17
	v_fma_f16 v27, -0.5, v21, v15
	v_fmac_f16_e32 v14, 0x38b4, v20
	v_sub_f16_e32 v32, v7, v2
	v_fmac_f16_e32 v15, -0.5, v6
	v_fmac_f16_e32 v5, 0xb8b4, v20
	v_sub_f16_sdwa v6, v11, v7 dst_sel:DWORD dst_unused:UNUSED_PAD src0_sel:WORD_1 src1_sel:WORD_1
	v_sub_f16_sdwa v21, v0, v2 dst_sel:DWORD dst_unused:UNUSED_PAD src0_sel:WORD_1 src1_sel:WORD_1
	;; [unrolled: 1-line block ×4, first 2 shown]
	v_sub_f16_e32 v34, v11, v0
	v_fmamk_f16 v17, v32, 0x3b9c, v15
	v_add_f16_e32 v33, v21, v6
	v_fmac_f16_e32 v15, 0xbb9c, v32
	v_add_f16_e32 v6, v30, v29
	v_fmac_f16_e32 v14, 0x34f2, v22
	v_fmac_f16_e32 v5, 0x34f2, v22
	v_add_f16_e32 v21, v8, v3
	v_sub_f16_e32 v22, v1, v3
	v_sub_f16_e32 v29, v12, v8
	v_fmac_f16_e32 v17, 0xb8b4, v34
	v_fmac_f16_e32 v15, 0x38b4, v34
	v_fma_f16 v35, -0.5, v21, v10
	v_add_f16_sdwa v21, v8, v3 dst_sel:DWORD dst_unused:UNUSED_PAD src0_sel:WORD_1 src1_sel:WORD_1
	v_add_f16_e32 v37, v29, v22
	v_lshrrev_b32_e32 v22, 16, v10
	v_add_f16_sdwa v30, v12, v1 dst_sel:DWORD dst_unused:UNUSED_PAD src0_sel:WORD_1 src1_sel:WORD_1
	v_fmac_f16_e32 v17, 0x34f2, v6
	v_fmac_f16_e32 v15, 0x34f2, v6
	v_add_f16_e32 v6, v12, v1
	v_sub_f16_e32 v31, v3, v1
	v_sub_f16_e32 v36, v8, v12
	v_fma_f16 v43, -0.5, v21, v22
	v_sub_f16_e32 v45, v8, v3
	v_fmac_f16_e32 v22, -0.5, v30
	v_sub_f16_sdwa v39, v8, v3 dst_sel:DWORD dst_unused:UNUSED_PAD src0_sel:WORD_1 src1_sel:WORD_1
	v_fma_f16 v6, -0.5, v6, v10
	v_sub_f16_sdwa v40, v12, v1 dst_sel:DWORD dst_unused:UNUSED_PAD src0_sel:WORD_1 src1_sel:WORD_1
	v_add_f16_e32 v30, v36, v31
	v_sub_f16_e32 v48, v12, v1
	v_fmamk_f16 v31, v45, 0x3b9c, v22
	v_sub_f16_sdwa v36, v8, v12 dst_sel:DWORD dst_unused:UNUSED_PAD src0_sel:WORD_1 src1_sel:WORD_1
	v_sub_f16_sdwa v38, v3, v1 dst_sel:DWORD dst_unused:UNUSED_PAD src0_sel:WORD_1 src1_sel:WORD_1
	v_fmamk_f16 v29, v39, 0xbb9c, v6
	v_fmamk_f16 v21, v40, 0xbb9c, v35
	v_fmac_f16_e32 v6, 0x3b9c, v39
	v_fmac_f16_e32 v31, 0xb8b4, v48
	v_add_f16_e32 v36, v36, v38
	v_sub_f16_sdwa v38, v12, v8 dst_sel:DWORD dst_unused:UNUSED_PAD src0_sel:WORD_1 src1_sel:WORD_1
	v_sub_f16_sdwa v41, v1, v3 dst_sel:DWORD dst_unused:UNUSED_PAD src0_sel:WORD_1 src1_sel:WORD_1
	v_fmamk_f16 v44, v48, 0x3b9c, v43
	v_fmac_f16_e32 v22, 0xbb9c, v45
	v_fmac_f16_e32 v29, 0x38b4, v40
	v_fmac_f16_e32 v21, 0xb8b4, v39
	v_fmac_f16_e32 v31, 0x34f2, v36
	v_fmac_f16_e32 v6, 0xb8b4, v40
	v_add_f16_e32 v49, v38, v41
	v_fmac_f16_e32 v44, 0x38b4, v45
	v_fmac_f16_e32 v22, 0x38b4, v48
	v_fmamk_f16 v13, v20, 0xbb9c, v16
	v_fmamk_f16 v18, v34, 0x3b9c, v27
	v_fmac_f16_e32 v29, 0x34f2, v30
	v_mul_f16_e32 v38, 0x3b9c, v31
	v_fmac_f16_e32 v6, 0x34f2, v30
	v_fmac_f16_e32 v21, 0x34f2, v37
	;; [unrolled: 1-line block ×7, first 2 shown]
	v_mul_f16_e32 v30, 0x34f2, v6
	v_mul_f16_e32 v36, 0x3a79, v21
	;; [unrolled: 1-line block ×5, first 2 shown]
	v_fmac_f16_e32 v13, 0x34f2, v28
	v_fmac_f16_e32 v18, 0x34f2, v33
	v_fma_f16 v41, v22, 0x3b9c, -v30
	v_fma_f16 v44, v44, 0x38b4, -v36
	v_fmac_f16_e32 v42, 0x34f2, v31
	v_fma_f16 v46, v6, 0xbb9c, -v29
	v_fma_f16 v47, v21, 0xb8b4, -v47
	v_sub_f16_e32 v6, v14, v38
	v_sub_f16_e32 v21, v5, v41
	;; [unrolled: 1-line block ×6, first 2 shown]
	v_mul_lo_u16 v29, v24, 10
	s_barrier
	buffer_gl0_inv
	s_and_saveexec_b32 s4, vcc_lo
	s_cbranch_execz .LBB0_7
; %bb.6:
	v_mul_f16_e32 v40, 0x3b9c, v40
	v_mul_f16_e32 v48, 0x3b9c, v48
	;; [unrolled: 1-line block ×5, first 2 shown]
	v_add_f16_e32 v35, v40, v35
	v_mul_f16_e32 v40, 0x38b4, v45
	v_sub_f16_e32 v43, v43, v48
	v_mul_f16_e32 v37, 0x34f2, v37
	v_mul_f16_e32 v19, 0x38b4, v19
	v_add_f16_e32 v35, v39, v35
	v_mul_f16_e32 v39, 0x34f2, v49
	v_sub_f16_e32 v40, v43, v40
	v_mul_f16_e32 v32, 0x38b4, v32
	v_sub_f16_e32 v27, v27, v34
	v_add_f16_e32 v34, v37, v35
	v_add_f16_e32 v16, v20, v16
	;; [unrolled: 1-line block ×3, first 2 shown]
	v_pk_add_f16 v9, v11, v9
	v_pk_add_f16 v10, v12, v10
	v_mul_f16_e32 v28, 0x34f2, v28
	v_mul_f16_e32 v33, 0x34f2, v33
	v_sub_f16_e32 v27, v27, v32
	v_mul_f16_e32 v32, 0x38b4, v34
	v_add_f16_e32 v16, v19, v16
	v_mul_f16_e32 v19, 0x38b4, v20
	v_pk_add_f16 v7, v7, v9
	v_pk_add_f16 v8, v8, v10
	v_add_f16_e32 v27, v33, v27
	v_fma_f16 v20, v20, 0x3a79, -v32
	v_add_f16_e32 v16, v28, v16
	v_fmac_f16_e32 v19, 0x3a79, v34
	v_pk_add_f16 v2, v2, v7
	v_pk_add_f16 v3, v3, v8
	v_add_f16_e32 v9, v15, v46
	v_add_f16_e32 v10, v17, v42
	;; [unrolled: 1-line block ×3, first 2 shown]
	v_and_b32_e32 v8, 0xffff, v29
	v_pk_add_f16 v15, v0, v2
	v_pk_add_f16 v17, v1, v3
	v_add_f16_e32 v1, v16, v19
	v_add_f16_e32 v2, v5, v41
	;; [unrolled: 1-line block ×3, first 2 shown]
	v_sub_f16_e32 v11, v27, v20
	v_sub_f16_e32 v12, v16, v19
	v_add_f16_e32 v18, v18, v47
	v_add_f16_e32 v13, v13, v44
	v_add_lshl_u32 v14, v25, v8, 2
	v_pk_add_f16 v0, v17, v15
	v_pack_b32_f16 v1, v1, v7
	v_pack_b32_f16 v3, v2, v9
	v_pack_b32_f16 v2, v5, v10
	v_pk_add_f16 v8, v15, v17 neg_lo:[0,1] neg_hi:[0,1]
	v_pack_b32_f16 v9, v12, v11
	v_perm_b32 v10, v22, v6, 0x5040100
	v_pack_b32_f16 v7, v13, v18
	v_perm_b32 v12, v31, v30, 0x5040100
	v_perm_b32 v11, v36, v21, 0x5040100
	ds_write2_b64 v14, v[0:1], v[2:3] offset1:1
	ds_write2_b64 v14, v[7:8], v[9:10] offset0:2 offset1:3
	ds_write_b64 v14, v[11:12] offset:32
.LBB0_7:
	s_or_b32 exec_lo, exec_lo, s4
	v_and_b32_e32 v0, 0xff, v24
	v_mov_b32_e32 v1, 6
	s_load_dwordx4 s[4:7], s[0:1], 0x0
	s_waitcnt lgkmcnt(0)
	s_barrier
	v_mul_lo_u16 v0, 0xcd, v0
	buffer_gl0_inv
	v_add_lshl_u32 v28, v25, v24, 2
	v_cmp_gt_u16_e64 s0, 10, v24
	v_lshrrev_b16 v5, 11, v0
	v_mul_lo_u16 v0, v5, 10
	v_mul_lo_u16 v5, 0x46, v5
	v_sub_nc_u16 v15, v24, v0
	v_and_b32_e32 v5, 0xfe, v5
	v_mul_u32_u24_sdwa v0, v15, v1 dst_sel:DWORD dst_unused:UNUSED_PAD src0_sel:BYTE_0 src1_sel:DWORD
	v_add_nc_u32_sdwa v5, v5, v15 dst_sel:DWORD dst_unused:UNUSED_PAD src0_sel:DWORD src1_sel:BYTE_0
	v_lshlrev_b32_e32 v7, 2, v0
	v_add_lshl_u32 v32, v25, v5, 2
	s_clause 0x1
	global_load_dwordx4 v[0:3], v7, s[2:3]
	global_load_dwordx2 v[7:8], v7, s[2:3] offset:16
	ds_read2_b32 v[9:10], v28 offset1:30
	ds_read2_b32 v[11:12], v28 offset0:60 offset1:90
	ds_read2_b32 v[13:14], v28 offset0:120 offset1:150
	ds_read_b32 v16, v28 offset:720
	s_waitcnt vmcnt(0) lgkmcnt(0)
	s_barrier
	buffer_gl0_inv
	v_lshrrev_b32_e32 v17, 16, v10
	v_lshrrev_b32_e32 v18, 16, v11
	;; [unrolled: 1-line block ×6, first 2 shown]
	v_mul_f16_sdwa v5, v17, v0 dst_sel:DWORD dst_unused:UNUSED_PAD src0_sel:DWORD src1_sel:WORD_1
	v_mul_f16_sdwa v33, v10, v0 dst_sel:DWORD dst_unused:UNUSED_PAD src0_sel:DWORD src1_sel:WORD_1
	;; [unrolled: 1-line block ×12, first 2 shown]
	v_fma_f16 v5, v10, v0, -v5
	v_fmac_f16_e32 v33, v17, v0
	v_fma_f16 v10, v11, v1, -v34
	v_fmac_f16_e32 v35, v18, v1
	v_fma_f16 v11, v12, v2, -v37
	v_fma_f16 v12, v13, v3, -v39
	;; [unrolled: 1-line block ×3, first 2 shown]
	v_fmac_f16_e32 v44, v27, v8
	v_fma_f16 v14, v14, v7, -v41
	v_fmac_f16_e32 v42, v20, v7
	v_fmac_f16_e32 v38, v15, v2
	;; [unrolled: 1-line block ×3, first 2 shown]
	v_add_f16_e32 v15, v5, v13
	v_add_f16_e32 v16, v33, v44
	;; [unrolled: 1-line block ×4, first 2 shown]
	v_sub_f16_e32 v5, v5, v13
	v_sub_f16_e32 v13, v33, v44
	;; [unrolled: 1-line block ×4, first 2 shown]
	v_add_f16_e32 v19, v11, v12
	v_add_f16_e32 v20, v38, v40
	v_sub_f16_e32 v11, v12, v11
	v_sub_f16_e32 v12, v40, v38
	v_add_f16_e32 v27, v17, v15
	v_add_f16_e32 v33, v18, v16
	v_sub_f16_e32 v34, v17, v15
	v_sub_f16_e32 v35, v18, v16
	;; [unrolled: 1-line block ×6, first 2 shown]
	v_add_f16_e32 v37, v11, v10
	v_add_f16_e32 v38, v12, v14
	v_sub_f16_e32 v39, v11, v10
	v_sub_f16_e32 v40, v12, v14
	;; [unrolled: 1-line block ×4, first 2 shown]
	v_add_f16_e32 v19, v19, v27
	v_add_f16_e32 v20, v20, v33
	v_sub_f16_e32 v11, v5, v11
	v_sub_f16_e32 v12, v13, v12
	v_add_f16_e32 v5, v37, v5
	v_add_f16_e32 v13, v38, v13
	v_mul_f16_e32 v15, 0x3a52, v15
	v_mul_f16_e32 v16, 0x3a52, v16
	;; [unrolled: 1-line block ×8, first 2 shown]
	v_add_f16_e32 v41, v9, v19
	v_add_f16_sdwa v9, v9, v20 dst_sel:DWORD dst_unused:UNUSED_PAD src0_sel:WORD_1 src1_sel:DWORD
	v_fmamk_f16 v17, v17, 0x2b26, v15
	v_fmamk_f16 v18, v18, 0x2b26, v16
	v_fma_f16 v27, v34, 0x39e0, -v27
	v_fma_f16 v33, v35, 0x39e0, -v33
	;; [unrolled: 1-line block ×4, first 2 shown]
	v_fmamk_f16 v34, v11, 0x3574, v37
	v_fmamk_f16 v35, v12, 0x3574, v38
	v_fma_f16 v10, v10, 0x3b00, -v37
	v_fma_f16 v14, v14, 0x3b00, -v38
	;; [unrolled: 1-line block ×4, first 2 shown]
	v_fmamk_f16 v19, v19, 0xbcab, v41
	v_fmamk_f16 v20, v20, 0xbcab, v9
	v_fmac_f16_e32 v34, 0x370e, v5
	v_fmac_f16_e32 v35, 0x370e, v13
	;; [unrolled: 1-line block ×6, first 2 shown]
	v_add_f16_e32 v5, v17, v19
	v_add_f16_e32 v13, v18, v20
	;; [unrolled: 1-line block ×7, first 2 shown]
	v_sub_f16_e32 v20, v13, v34
	v_add_f16_e32 v27, v12, v15
	v_sub_f16_e32 v37, v16, v11
	v_sub_f16_e32 v38, v17, v14
	v_add_f16_e32 v39, v10, v18
	v_add_f16_e32 v14, v14, v17
	v_sub_f16_e32 v10, v18, v10
	v_sub_f16_e32 v12, v15, v12
	v_add_f16_e32 v11, v11, v16
	v_sub_f16_e32 v5, v5, v35
	v_add_f16_e32 v33, v34, v13
	v_pack_b32_f16 v9, v41, v9
	v_pack_b32_f16 v13, v19, v20
	;; [unrolled: 1-line block ×7, first 2 shown]
	ds_write2_b32 v32, v9, v13 offset1:10
	ds_write2_b32 v32, v15, v16 offset0:20 offset1:30
	ds_write2_b32 v32, v10, v11 offset0:40 offset1:50
	ds_write_b32 v32, v12 offset:240
	s_waitcnt lgkmcnt(0)
	s_barrier
	buffer_gl0_inv
	ds_read2_b32 v[15:16], v28 offset1:30
	ds_read2_b32 v[17:18], v28 offset0:70 offset1:100
	ds_read2_b32 v[19:20], v28 offset0:140 offset1:170
	s_and_saveexec_b32 s1, s0
	s_cbranch_execz .LBB0_9
; %bb.8:
	ds_read2_b32 v[5:6], v28 offset0:60 offset1:130
	ds_read_b32 v21, v28 offset:800
	s_waitcnt lgkmcnt(1)
	v_lshrrev_b32_e32 v33, 16, v5
	v_lshrrev_b32_e32 v22, 16, v6
	s_waitcnt lgkmcnt(0)
	v_lshrrev_b32_e32 v36, 16, v21
.LBB0_9:
	s_or_b32 exec_lo, exec_lo, s1
	v_lshlrev_b32_e32 v9, 3, v24
	v_add_co_u32 v27, s1, v24, 60
	v_add_co_ci_u32_e64 v10, null, 0, 0, s1
	global_load_dwordx2 v[11:12], v9, s[2:3] offset:240
	v_add_nc_u32_e32 v9, 0xf0, v9
	s_waitcnt lgkmcnt(1)
	v_lshrrev_b32_e32 v37, 16, v17
	s_waitcnt lgkmcnt(0)
	v_lshrrev_b32_e32 v38, 16, v19
	v_lshrrev_b32_e32 v39, 16, v18
	;; [unrolled: 1-line block ×3, first 2 shown]
	global_load_dwordx2 v[13:14], v9, s[2:3] offset:240
	v_add_co_u32 v9, s1, v24, -10
	v_add_co_ci_u32_e64 v34, null, 0, -1, s1
	v_lshrrev_b32_e32 v35, 16, v15
	v_cndmask_b32_e64 v9, v9, v27, s0
	v_lshl_add_u32 v27, v24, 2, v26
	v_cndmask_b32_e64 v10, v34, v10, s0
	v_lshrrev_b32_e32 v34, 16, v16
	v_lshlrev_b64 v[9:10], 3, v[9:10]
	v_add_co_u32 v9, s1, s2, v9
	v_add_co_ci_u32_e64 v10, s1, s3, v10, s1
	global_load_dwordx2 v[9:10], v[9:10], off offset:240
	s_waitcnt vmcnt(2)
	v_mul_f16_sdwa v41, v37, v11 dst_sel:DWORD dst_unused:UNUSED_PAD src0_sel:DWORD src1_sel:WORD_1
	v_mul_f16_sdwa v42, v17, v11 dst_sel:DWORD dst_unused:UNUSED_PAD src0_sel:DWORD src1_sel:WORD_1
	;; [unrolled: 1-line block ×4, first 2 shown]
	v_fma_f16 v17, v17, v11, -v41
	v_fmac_f16_e32 v42, v37, v11
	v_fma_f16 v19, v19, v12, -v43
	s_waitcnt vmcnt(1)
	v_mul_f16_sdwa v37, v39, v13 dst_sel:DWORD dst_unused:UNUSED_PAD src0_sel:DWORD src1_sel:WORD_1
	v_mul_f16_sdwa v41, v18, v13 dst_sel:DWORD dst_unused:UNUSED_PAD src0_sel:DWORD src1_sel:WORD_1
	v_mul_f16_sdwa v43, v40, v14 dst_sel:DWORD dst_unused:UNUSED_PAD src0_sel:DWORD src1_sel:WORD_1
	v_mul_f16_sdwa v45, v20, v14 dst_sel:DWORD dst_unused:UNUSED_PAD src0_sel:DWORD src1_sel:WORD_1
	v_fmac_f16_e32 v44, v38, v12
	v_fma_f16 v18, v18, v13, -v37
	v_fmac_f16_e32 v41, v39, v13
	v_fma_f16 v20, v20, v14, -v43
	v_fmac_f16_e32 v45, v40, v14
	v_add_f16_e32 v37, v15, v17
	v_add_f16_e32 v38, v17, v19
	v_sub_f16_e32 v39, v42, v44
	v_add_f16_e32 v40, v35, v42
	v_add_f16_e32 v42, v42, v44
	v_sub_f16_e32 v43, v17, v19
	v_add_f16_e32 v17, v37, v19
	v_fma_f16 v19, -0.5, v38, v15
	v_add_f16_e32 v38, v40, v44
	v_fmac_f16_e32 v35, -0.5, v42
	v_add_f16_e32 v40, v18, v20
	v_sub_f16_e32 v42, v41, v45
	v_add_f16_e32 v44, v34, v41
	v_add_f16_e32 v41, v41, v45
	;; [unrolled: 1-line block ×3, first 2 shown]
	s_waitcnt vmcnt(0)
	v_mul_f16_sdwa v47, v22, v9 dst_sel:DWORD dst_unused:UNUSED_PAD src0_sel:DWORD src1_sel:WORD_1
	v_mul_f16_sdwa v48, v6, v9 dst_sel:DWORD dst_unused:UNUSED_PAD src0_sel:DWORD src1_sel:WORD_1
	;; [unrolled: 1-line block ×4, first 2 shown]
	v_sub_f16_e32 v46, v18, v20
	v_fma_f16 v6, v6, v9, -v47
	v_fmac_f16_e32 v48, v22, v9
	v_fma_f16 v21, v21, v10, -v49
	v_fmac_f16_e32 v50, v36, v10
	v_fmamk_f16 v37, v43, 0xbaee, v35
	v_fmac_f16_e32 v35, 0x3aee, v43
	v_fmac_f16_e32 v16, -0.5, v40
	v_fmac_f16_e32 v34, -0.5, v41
	v_add_f16_e32 v43, v6, v21
	v_add_f16_e32 v47, v48, v50
	v_fmamk_f16 v18, v39, 0x3aee, v19
	v_fmac_f16_e32 v19, 0xbaee, v39
	v_add_f16_e32 v20, v15, v20
	v_add_f16_e32 v39, v44, v45
	v_fmamk_f16 v15, v42, 0x3aee, v16
	v_fmac_f16_e32 v16, 0xbaee, v42
	v_fmamk_f16 v42, v46, 0xbaee, v34
	v_fmac_f16_e32 v34, 0x3aee, v46
	v_add_f16_e32 v22, v5, v6
	v_sub_f16_e32 v46, v48, v50
	v_add_f16_e32 v44, v33, v48
	v_sub_f16_e32 v6, v6, v21
	v_fmac_f16_e32 v5, -0.5, v43
	v_fmac_f16_e32 v33, -0.5, v47
	v_pack_b32_f16 v40, v17, v38
	v_pack_b32_f16 v45, v20, v39
	v_add_f16_e32 v21, v22, v21
	v_add_f16_e32 v44, v44, v50
	v_fmamk_f16 v22, v46, 0x3aee, v5
	v_fmac_f16_e32 v5, 0xbaee, v46
	v_fmamk_f16 v43, v6, 0xbaee, v33
	v_fmac_f16_e32 v33, 0x3aee, v6
	v_pack_b32_f16 v36, v18, v37
	v_pack_b32_f16 v48, v15, v42
	;; [unrolled: 1-line block ×4, first 2 shown]
	ds_write2_b32 v27, v40, v45 offset1:30
	ds_write2_b32 v27, v36, v48 offset0:70 offset1:100
	ds_write2_b32 v27, v41, v49 offset0:140 offset1:170
	s_and_saveexec_b32 s1, s0
	s_cbranch_execz .LBB0_11
; %bb.10:
	v_perm_b32 v6, v44, v21, 0x5040100
	v_perm_b32 v36, v43, v22, 0x5040100
	;; [unrolled: 1-line block ×3, first 2 shown]
	ds_write2_b32 v27, v6, v36 offset0:60 offset1:130
	ds_write_b32 v27, v40 offset:800
.LBB0_11:
	s_or_b32 exec_lo, exec_lo, s1
	s_waitcnt lgkmcnt(0)
	s_barrier
	buffer_gl0_inv
	s_and_saveexec_b32 s1, vcc_lo
	s_cbranch_execz .LBB0_13
; %bb.12:
	global_load_dword v6, v23, s[10:11] offset:840
	s_add_u32 s2, s10, 0x348
	s_addc_u32 s3, s11, 0
	s_clause 0x8
	global_load_dword v36, v23, s[2:3] offset:84
	global_load_dword v53, v23, s[2:3] offset:168
	global_load_dword v54, v23, s[2:3] offset:252
	global_load_dword v55, v23, s[2:3] offset:336
	global_load_dword v56, v23, s[2:3] offset:420
	global_load_dword v57, v23, s[2:3] offset:504
	global_load_dword v58, v23, s[2:3] offset:588
	global_load_dword v59, v23, s[2:3] offset:672
	global_load_dword v60, v23, s[2:3] offset:756
	ds_read2_b32 v[40:41], v27 offset1:21
	ds_read2_b32 v[45:46], v27 offset0:42 offset1:63
	ds_read2_b32 v[47:48], v27 offset0:84 offset1:105
	ds_read2_b32 v[49:50], v27 offset0:126 offset1:147
	ds_read2_b32 v[51:52], v27 offset0:168 offset1:189
	s_waitcnt lgkmcnt(4)
	v_lshrrev_b32_e32 v61, 16, v40
	v_lshrrev_b32_e32 v62, 16, v41
	s_waitcnt lgkmcnt(3)
	v_lshrrev_b32_e32 v63, 16, v45
	v_lshrrev_b32_e32 v64, 16, v46
	;; [unrolled: 3-line block ×5, first 2 shown]
	s_waitcnt vmcnt(8)
	v_mul_f16_sdwa v73, v62, v36 dst_sel:DWORD dst_unused:UNUSED_PAD src0_sel:DWORD src1_sel:WORD_1
	v_mul_f16_sdwa v74, v41, v36 dst_sel:DWORD dst_unused:UNUSED_PAD src0_sel:DWORD src1_sel:WORD_1
	s_waitcnt vmcnt(7)
	v_mul_f16_sdwa v75, v63, v53 dst_sel:DWORD dst_unused:UNUSED_PAD src0_sel:DWORD src1_sel:WORD_1
	v_mul_f16_sdwa v76, v45, v53 dst_sel:DWORD dst_unused:UNUSED_PAD src0_sel:DWORD src1_sel:WORD_1
	;; [unrolled: 1-line block ×4, first 2 shown]
	s_waitcnt vmcnt(6)
	v_mul_f16_sdwa v77, v64, v54 dst_sel:DWORD dst_unused:UNUSED_PAD src0_sel:DWORD src1_sel:WORD_1
	v_mul_f16_sdwa v78, v46, v54 dst_sel:DWORD dst_unused:UNUSED_PAD src0_sel:DWORD src1_sel:WORD_1
	s_waitcnt vmcnt(5)
	v_mul_f16_sdwa v79, v65, v55 dst_sel:DWORD dst_unused:UNUSED_PAD src0_sel:DWORD src1_sel:WORD_1
	v_mul_f16_sdwa v80, v47, v55 dst_sel:DWORD dst_unused:UNUSED_PAD src0_sel:DWORD src1_sel:WORD_1
	s_waitcnt vmcnt(4)
	v_mul_f16_sdwa v81, v66, v56 dst_sel:DWORD dst_unused:UNUSED_PAD src0_sel:DWORD src1_sel:WORD_1
	v_mul_f16_sdwa v82, v48, v56 dst_sel:DWORD dst_unused:UNUSED_PAD src0_sel:DWORD src1_sel:WORD_1
	s_waitcnt vmcnt(3)
	v_mul_f16_sdwa v83, v67, v57 dst_sel:DWORD dst_unused:UNUSED_PAD src0_sel:DWORD src1_sel:WORD_1
	v_mul_f16_sdwa v84, v49, v57 dst_sel:DWORD dst_unused:UNUSED_PAD src0_sel:DWORD src1_sel:WORD_1
	s_waitcnt vmcnt(2)
	v_mul_f16_sdwa v85, v68, v58 dst_sel:DWORD dst_unused:UNUSED_PAD src0_sel:DWORD src1_sel:WORD_1
	v_mul_f16_sdwa v86, v50, v58 dst_sel:DWORD dst_unused:UNUSED_PAD src0_sel:DWORD src1_sel:WORD_1
	s_waitcnt vmcnt(1)
	v_mul_f16_sdwa v87, v69, v59 dst_sel:DWORD dst_unused:UNUSED_PAD src0_sel:DWORD src1_sel:WORD_1
	v_mul_f16_sdwa v88, v51, v59 dst_sel:DWORD dst_unused:UNUSED_PAD src0_sel:DWORD src1_sel:WORD_1
	s_waitcnt vmcnt(0)
	v_mul_f16_sdwa v89, v70, v60 dst_sel:DWORD dst_unused:UNUSED_PAD src0_sel:DWORD src1_sel:WORD_1
	v_mul_f16_sdwa v90, v52, v60 dst_sel:DWORD dst_unused:UNUSED_PAD src0_sel:DWORD src1_sel:WORD_1
	v_fma_f16 v40, v40, v6, -v71
	v_fmac_f16_e32 v72, v61, v6
	v_fma_f16 v6, v41, v36, -v73
	v_fmac_f16_e32 v74, v62, v36
	;; [unrolled: 2-line block ×10, first 2 shown]
	v_pack_b32_f16 v40, v40, v72
	v_pack_b32_f16 v6, v6, v74
	;; [unrolled: 1-line block ×10, first 2 shown]
	ds_write2_b32 v27, v40, v6 offset1:21
	ds_write2_b32 v27, v36, v41 offset0:42 offset1:63
	ds_write2_b32 v27, v45, v46 offset0:84 offset1:105
	;; [unrolled: 1-line block ×4, first 2 shown]
.LBB0_13:
	s_or_b32 exec_lo, exec_lo, s1
	s_waitcnt lgkmcnt(0)
	s_barrier
	buffer_gl0_inv
	s_and_saveexec_b32 s1, vcc_lo
	s_cbranch_execz .LBB0_15
; %bb.14:
	ds_read2_b32 v[17:18], v27 offset1:21
	ds_read2_b32 v[19:20], v27 offset0:42 offset1:63
	ds_read2_b32 v[15:16], v27 offset0:84 offset1:105
	;; [unrolled: 1-line block ×4, first 2 shown]
	s_waitcnt lgkmcnt(4)
	v_lshrrev_b32_e32 v38, 16, v17
	v_lshrrev_b32_e32 v37, 16, v18
	s_waitcnt lgkmcnt(3)
	v_lshrrev_b32_e32 v35, 16, v19
	v_lshrrev_b32_e32 v39, 16, v20
	;; [unrolled: 3-line block ×5, first 2 shown]
	v_mov_b32_e32 v30, v6
.LBB0_15:
	s_or_b32 exec_lo, exec_lo, s1
	v_add_f16_e32 v6, v5, v19
	v_sub_f16_e32 v47, v42, v44
	v_sub_f16_e32 v48, v35, v33
	;; [unrolled: 1-line block ×3, first 2 shown]
	v_add_f16_e32 v40, v33, v35
	v_fma_f16 v45, -0.5, v6, v17
	v_sub_f16_e32 v6, v21, v5
	v_sub_f16_e32 v41, v44, v33
	;; [unrolled: 1-line block ×3, first 2 shown]
	v_fma_f16 v49, -0.5, v40, v38
	v_fmamk_f16 v46, v47, 0x3b9c, v45
	v_fmac_f16_e32 v45, 0xbb9c, v47
	v_add_f16_e32 v6, v6, v36
	v_sub_f16_e32 v40, v42, v35
	v_sub_f16_e32 v57, v34, v43
	v_fmac_f16_e32 v46, 0xb8b4, v48
	v_fmac_f16_e32 v45, 0x38b4, v48
	v_sub_f16_e32 v60, v20, v30
	v_add_f16_e32 v36, v41, v40
	v_add_f16_e32 v40, v20, v30
	v_fmac_f16_e32 v46, 0x34f2, v6
	v_fmac_f16_e32 v45, 0x34f2, v6
	v_add_f16_e32 v6, v39, v31
	v_sub_f16_e32 v52, v34, v39
	v_fma_f16 v40, -0.5, v40, v18
	v_sub_f16_e32 v55, v43, v31
	v_sub_f16_e32 v53, v15, v21
	v_fma_f16 v6, -0.5, v6, v37
	v_sub_f16_e32 v59, v39, v31
	v_fmamk_f16 v41, v57, 0x3b9c, v40
	v_sub_f16_e32 v51, v16, v20
	v_sub_f16_e32 v61, v22, v30
	v_fmamk_f16 v54, v58, 0xbb9c, v6
	v_fmac_f16_e32 v6, 0x3b9c, v58
	v_fmac_f16_e32 v40, 0xbb9c, v57
	v_add_f16_e32 v52, v52, v55
	v_sub_f16_e32 v56, v19, v5
	v_fmac_f16_e32 v54, 0x38b4, v60
	v_fmac_f16_e32 v6, 0xb8b4, v60
	v_fmamk_f16 v50, v53, 0xbb9c, v49
	v_fmac_f16_e32 v49, 0x3b9c, v53
	v_fmac_f16_e32 v41, 0xb8b4, v59
	v_add_f16_e32 v51, v51, v61
	v_fmac_f16_e32 v40, 0x38b4, v59
	v_fmac_f16_e32 v54, 0x34f2, v52
	v_fmac_f16_e32 v6, 0x34f2, v52
	v_fmac_f16_e32 v50, 0x38b4, v56
	v_fmac_f16_e32 v49, 0xb8b4, v56
	v_fmac_f16_e32 v41, 0x34f2, v51
	v_fmac_f16_e32 v40, 0x34f2, v51
	v_mul_f16_e32 v51, 0xbb9c, v54
	v_mul_f16_e32 v52, 0xbb9c, v6
	;; [unrolled: 1-line block ×4, first 2 shown]
	v_fmac_f16_e32 v50, 0x34f2, v36
	v_fmac_f16_e32 v49, 0x34f2, v36
	;; [unrolled: 1-line block ×6, first 2 shown]
	v_sub_f16_e32 v6, v46, v51
	v_sub_f16_e32 v36, v45, v52
	;; [unrolled: 1-line block ×4, first 2 shown]
	s_barrier
	buffer_gl0_inv
	s_and_saveexec_b32 s1, vcc_lo
	s_cbranch_execz .LBB0_17
; %bb.16:
	v_add_f16_e32 v64, v44, v42
	v_add_f16_e32 v61, v34, v43
	v_sub_f16_e32 v62, v35, v42
	v_sub_f16_e32 v63, v33, v44
	;; [unrolled: 1-line block ×4, first 2 shown]
	v_fma_f16 v64, -0.5, v64, v38
	v_add_f16_e32 v65, v16, v22
	v_fma_f16 v61, -0.5, v61, v37
	v_add_f16_e32 v62, v63, v62
	v_add_f16_e32 v63, v66, v70
	v_fmamk_f16 v66, v56, 0xbb9c, v64
	v_fmac_f16_e32 v64, 0x3b9c, v56
	v_sub_f16_e32 v67, v39, v34
	v_sub_f16_e32 v68, v31, v43
	v_fma_f16 v65, -0.5, v65, v18
	v_fmamk_f16 v69, v60, 0xbb9c, v61
	v_fmac_f16_e32 v61, 0x3b9c, v60
	v_fmac_f16_e32 v66, 0xb8b4, v53
	;; [unrolled: 1-line block ×3, first 2 shown]
	v_add_f16_e32 v35, v35, v38
	v_add_f16_e32 v53, v21, v15
	;; [unrolled: 1-line block ×3, first 2 shown]
	v_fmamk_f16 v68, v59, 0x3b9c, v65
	v_fmac_f16_e32 v69, 0xb8b4, v58
	v_fmac_f16_e32 v65, 0xbb9c, v59
	;; [unrolled: 1-line block ×3, first 2 shown]
	v_add_f16_e32 v35, v42, v35
	v_add_f16_e32 v37, v39, v37
	v_fma_f16 v42, -0.5, v53, v17
	v_add_f16_e32 v17, v19, v17
	v_add_f16_e32 v18, v20, v18
	v_fmac_f16_e32 v68, 0x38b4, v57
	v_fmac_f16_e32 v69, 0x34f2, v67
	;; [unrolled: 1-line block ×4, first 2 shown]
	v_add_f16_e32 v35, v44, v35
	v_add_f16_e32 v34, v34, v37
	v_sub_f16_e32 v37, v19, v15
	v_sub_f16_e32 v44, v5, v21
	v_fmamk_f16 v53, v48, 0x3b9c, v42
	v_fmac_f16_e32 v42, 0xbb9c, v48
	v_add_f16_e32 v15, v15, v17
	v_add_f16_e32 v16, v16, v18
	v_fmac_f16_e32 v68, 0x34f2, v63
	v_fmac_f16_e32 v65, 0x34f2, v63
	v_mul_f16_e32 v39, 0x3a79, v61
	v_add_f16_e32 v33, v33, v35
	v_add_f16_e32 v34, v43, v34
	;; [unrolled: 1-line block ×3, first 2 shown]
	v_fmac_f16_e32 v53, 0x38b4, v47
	v_mul_f16_e32 v17, 0xb8b4, v69
	v_fmac_f16_e32 v42, 0xb8b4, v47
	v_mul_f16_e32 v18, 0xb8b4, v61
	v_add_f16_e32 v15, v21, v15
	v_add_f16_e32 v16, v22, v16
	v_mul_f16_e32 v56, 0xba79, v69
	v_fmac_f16_e32 v64, 0x34f2, v62
	v_fmac_f16_e32 v39, 0x38b4, v65
	v_add_f16_e32 v19, v31, v34
	v_fmac_f16_e32 v53, 0x34f2, v35
	v_fmac_f16_e32 v17, 0xba79, v68
	;; [unrolled: 1-line block ×4, first 2 shown]
	v_add_f16_e32 v5, v5, v15
	v_add_f16_e32 v15, v30, v16
	v_fmac_f16_e32 v66, 0x34f2, v62
	v_fmac_f16_e32 v56, 0x38b4, v68
	v_sub_f16_e32 v20, v64, v39
	v_sub_f16_e32 v22, v33, v19
	;; [unrolled: 1-line block ×5, first 2 shown]
	v_add_f16_e32 v35, v49, v55
	v_add_f16_e32 v37, v50, v54
	;; [unrolled: 1-line block ×5, first 2 shown]
	v_and_b32_e32 v17, 0xffff, v29
	v_add_f16_e32 v18, v42, v18
	v_add_f16_e32 v5, v15, v5
	;; [unrolled: 1-line block ×5, first 2 shown]
	v_sub_f16_e32 v38, v66, v56
	v_lshl_add_u32 v26, v17, 2, v26
	v_pack_b32_f16 v16, v18, v16
	v_pack_b32_f16 v15, v5, v19
	;; [unrolled: 1-line block ×7, first 2 shown]
	v_perm_b32 v20, v40, v6, 0x5040100
	v_pack_b32_f16 v30, v30, v38
	v_perm_b32 v29, v41, v36, 0x5040100
	ds_write2_b64 v26, v[15:16], v[17:18] offset1:1
	ds_write2_b64 v26, v[21:22], v[19:20] offset0:2 offset1:3
	ds_write_b64 v26, v[29:30] offset:32
.LBB0_17:
	s_or_b32 exec_lo, exec_lo, s1
	s_waitcnt lgkmcnt(0)
	s_barrier
	buffer_gl0_inv
	ds_read2_b32 v[15:16], v28 offset1:30
	ds_read2_b32 v[17:18], v28 offset0:60 offset1:90
	ds_read2_b32 v[19:20], v28 offset0:120 offset1:150
	ds_read_b32 v5, v28 offset:720
	s_waitcnt lgkmcnt(0)
	s_barrier
	buffer_gl0_inv
	v_lshrrev_b32_e32 v21, 16, v16
	v_lshrrev_b32_e32 v22, 16, v17
	v_lshrrev_b32_e32 v30, 16, v20
	v_lshrrev_b32_e32 v31, 16, v5
	v_mul_f16_sdwa v33, v0, v16 dst_sel:DWORD dst_unused:UNUSED_PAD src0_sel:WORD_1 src1_sel:DWORD
	v_mul_f16_sdwa v39, v0, v21 dst_sel:DWORD dst_unused:UNUSED_PAD src0_sel:WORD_1 src1_sel:DWORD
	v_lshrrev_b32_e32 v26, 16, v18
	v_lshrrev_b32_e32 v29, 16, v19
	v_mul_f16_sdwa v34, v1, v17 dst_sel:DWORD dst_unused:UNUSED_PAD src0_sel:WORD_1 src1_sel:DWORD
	v_mul_f16_sdwa v35, v2, v18 dst_sel:DWORD dst_unused:UNUSED_PAD src0_sel:WORD_1 src1_sel:DWORD
	;; [unrolled: 1-line block ×3, first 2 shown]
	v_fma_f16 v21, v0, v21, -v33
	v_mul_f16_sdwa v33, v1, v22 dst_sel:DWORD dst_unused:UNUSED_PAD src0_sel:WORD_1 src1_sel:DWORD
	v_mul_f16_sdwa v42, v7, v30 dst_sel:DWORD dst_unused:UNUSED_PAD src0_sel:WORD_1 src1_sel:DWORD
	v_mul_f16_sdwa v43, v8, v31 dst_sel:DWORD dst_unused:UNUSED_PAD src0_sel:WORD_1 src1_sel:DWORD
	v_fmac_f16_e32 v39, v0, v16
	v_mul_f16_sdwa v0, v7, v20 dst_sel:DWORD dst_unused:UNUSED_PAD src0_sel:WORD_1 src1_sel:DWORD
	v_mul_f16_sdwa v37, v3, v19 dst_sel:DWORD dst_unused:UNUSED_PAD src0_sel:WORD_1 src1_sel:DWORD
	v_fma_f16 v22, v1, v22, -v34
	v_mul_f16_sdwa v34, v2, v26 dst_sel:DWORD dst_unused:UNUSED_PAD src0_sel:WORD_1 src1_sel:DWORD
	v_fma_f16 v26, v2, v26, -v35
	v_mul_f16_sdwa v35, v3, v29 dst_sel:DWORD dst_unused:UNUSED_PAD src0_sel:WORD_1 src1_sel:DWORD
	v_fmac_f16_e32 v33, v1, v17
	v_fmac_f16_e32 v43, v8, v5
	v_fma_f16 v1, v8, v31, -v38
	v_fmac_f16_e32 v42, v7, v20
	v_fma_f16 v0, v7, v30, -v0
	v_fmac_f16_e32 v34, v2, v18
	v_fmac_f16_e32 v35, v3, v19
	v_fma_f16 v2, v3, v29, -v37
	v_add_f16_e32 v3, v39, v43
	v_add_f16_e32 v5, v21, v1
	;; [unrolled: 1-line block ×4, first 2 shown]
	v_sub_f16_e32 v1, v21, v1
	v_sub_f16_e32 v17, v33, v42
	v_sub_f16_e32 v0, v22, v0
	v_add_f16_e32 v18, v34, v35
	v_add_f16_e32 v19, v26, v2
	v_sub_f16_e32 v20, v35, v34
	v_sub_f16_e32 v2, v2, v26
	v_add_f16_e32 v21, v8, v3
	v_add_f16_e32 v22, v16, v5
	v_sub_f16_e32 v7, v39, v43
	v_sub_f16_e32 v26, v8, v3
	;; [unrolled: 1-line block ×7, first 2 shown]
	v_add_f16_e32 v30, v20, v17
	v_add_f16_e32 v31, v2, v0
	v_sub_f16_e32 v33, v20, v17
	v_sub_f16_e32 v34, v2, v0
	v_add_f16_e32 v18, v18, v21
	v_add_f16_e32 v19, v19, v22
	v_sub_f16_e32 v17, v17, v7
	v_sub_f16_e32 v0, v0, v1
	;; [unrolled: 1-line block ×4, first 2 shown]
	v_add_f16_e32 v7, v30, v7
	v_add_f16_e32 v1, v31, v1
	;; [unrolled: 1-line block ×3, first 2 shown]
	v_add_f16_sdwa v22, v15, v19 dst_sel:DWORD dst_unused:UNUSED_PAD src0_sel:WORD_1 src1_sel:DWORD
	v_mul_f16_e32 v3, 0x3a52, v3
	v_mul_f16_e32 v5, 0x3a52, v5
	;; [unrolled: 1-line block ×8, first 2 shown]
	v_fmamk_f16 v18, v18, 0xbcab, v21
	v_fmamk_f16 v19, v19, 0xbcab, v22
	;; [unrolled: 1-line block ×4, first 2 shown]
	v_fma_f16 v15, v26, 0x39e0, -v15
	v_fma_f16 v30, v29, 0x39e0, -v30
	;; [unrolled: 1-line block ×4, first 2 shown]
	v_fmamk_f16 v26, v20, 0xb574, v31
	v_fmamk_f16 v29, v2, 0xb574, v33
	v_fma_f16 v17, v17, 0xbb00, -v31
	v_fma_f16 v0, v0, 0xbb00, -v33
	;; [unrolled: 1-line block ×4, first 2 shown]
	v_add_f16_e32 v8, v8, v18
	v_add_f16_e32 v16, v16, v19
	v_fmac_f16_e32 v26, 0xb70e, v7
	v_fmac_f16_e32 v29, 0xb70e, v1
	v_add_f16_e32 v15, v15, v18
	v_add_f16_e32 v30, v30, v19
	;; [unrolled: 1-line block ×4, first 2 shown]
	v_fmac_f16_e32 v17, 0xb70e, v7
	v_fmac_f16_e32 v2, 0xb70e, v1
	;; [unrolled: 1-line block ×4, first 2 shown]
	v_add_f16_e32 v1, v29, v8
	v_sub_f16_e32 v7, v16, v26
	v_add_f16_e32 v18, v2, v3
	v_sub_f16_e32 v19, v5, v20
	v_sub_f16_e32 v31, v15, v0
	v_add_f16_e32 v33, v17, v30
	v_add_f16_e32 v0, v0, v15
	v_sub_f16_e32 v17, v30, v17
	v_sub_f16_e32 v2, v3, v2
	v_add_f16_e32 v3, v20, v5
	v_sub_f16_e32 v5, v8, v29
	v_add_f16_e32 v15, v26, v16
	v_pack_b32_f16 v8, v21, v22
	v_pack_b32_f16 v1, v1, v7
	;; [unrolled: 1-line block ×7, first 2 shown]
	ds_write2_b32 v32, v8, v1 offset1:10
	ds_write2_b32 v32, v7, v16 offset0:20 offset1:30
	ds_write2_b32 v32, v0, v2 offset0:40 offset1:50
	ds_write_b32 v32, v3 offset:240
	s_waitcnt lgkmcnt(0)
	s_barrier
	buffer_gl0_inv
	ds_read2_b32 v[0:1], v28 offset1:30
	ds_read2_b32 v[7:8], v28 offset0:70 offset1:100
	ds_read2_b32 v[2:3], v28 offset0:140 offset1:170
	s_and_saveexec_b32 s1, s0
	s_cbranch_execz .LBB0_19
; %bb.18:
	ds_read2_b32 v[5:6], v28 offset0:60 offset1:130
	ds_read_b32 v36, v28 offset:800
	s_waitcnt lgkmcnt(1)
	v_lshrrev_b32_e32 v15, 16, v5
	v_lshrrev_b32_e32 v40, 16, v6
	s_waitcnt lgkmcnt(0)
	v_lshrrev_b32_e32 v41, 16, v36
.LBB0_19:
	s_or_b32 exec_lo, exec_lo, s1
	s_waitcnt lgkmcnt(1)
	v_lshrrev_b32_e32 v16, 16, v7
	s_waitcnt lgkmcnt(0)
	v_lshrrev_b32_e32 v18, 16, v2
	v_lshrrev_b32_e32 v20, 16, v8
	v_mul_f16_sdwa v22, v11, v7 dst_sel:DWORD dst_unused:UNUSED_PAD src0_sel:WORD_1 src1_sel:DWORD
	v_lshrrev_b32_e32 v26, 16, v3
	v_mul_f16_sdwa v21, v11, v16 dst_sel:DWORD dst_unused:UNUSED_PAD src0_sel:WORD_1 src1_sel:DWORD
	v_mul_f16_sdwa v28, v12, v18 dst_sel:DWORD dst_unused:UNUSED_PAD src0_sel:WORD_1 src1_sel:DWORD
	;; [unrolled: 1-line block ×3, first 2 shown]
	v_lshrrev_b32_e32 v17, 16, v0
	v_lshrrev_b32_e32 v19, 16, v1
	v_fmac_f16_e32 v21, v11, v7
	v_fma_f16 v7, v11, v16, -v22
	v_mul_f16_sdwa v11, v13, v20 dst_sel:DWORD dst_unused:UNUSED_PAD src0_sel:WORD_1 src1_sel:DWORD
	v_fmac_f16_e32 v28, v12, v2
	v_mul_f16_sdwa v2, v13, v8 dst_sel:DWORD dst_unused:UNUSED_PAD src0_sel:WORD_1 src1_sel:DWORD
	v_fma_f16 v12, v12, v18, -v29
	v_mul_f16_sdwa v16, v14, v26 dst_sel:DWORD dst_unused:UNUSED_PAD src0_sel:WORD_1 src1_sel:DWORD
	v_fmac_f16_e32 v11, v13, v8
	v_mul_f16_sdwa v8, v14, v3 dst_sel:DWORD dst_unused:UNUSED_PAD src0_sel:WORD_1 src1_sel:DWORD
	v_fma_f16 v2, v13, v20, -v2
	v_add_f16_e32 v13, v21, v28
	v_fmac_f16_e32 v16, v14, v3
	v_add_f16_e32 v3, v0, v21
	v_fma_f16 v8, v14, v26, -v8
	v_add_f16_e32 v14, v7, v12
	v_fma_f16 v0, -0.5, v13, v0
	v_sub_f16_e32 v13, v7, v12
	v_add_f16_e32 v7, v17, v7
	v_add_f16_e32 v20, v1, v11
	v_fmac_f16_e32 v17, -0.5, v14
	v_sub_f16_e32 v14, v21, v28
	v_fmamk_f16 v18, v13, 0xbaee, v0
	v_add_f16_e32 v7, v7, v12
	v_add_f16_e32 v12, v11, v16
	v_fmac_f16_e32 v0, 0x3aee, v13
	v_fmamk_f16 v13, v14, 0x3aee, v17
	v_fmac_f16_e32 v17, 0xbaee, v14
	v_add_f16_e32 v14, v2, v8
	v_fmac_f16_e32 v1, -0.5, v12
	v_sub_f16_e32 v12, v2, v8
	v_add_f16_e32 v2, v19, v2
	v_sub_f16_e32 v11, v11, v16
	v_fmac_f16_e32 v19, -0.5, v14
	v_add_f16_e32 v3, v3, v28
	v_add_f16_e32 v14, v20, v16
	;; [unrolled: 1-line block ×3, first 2 shown]
	v_fmamk_f16 v16, v12, 0xbaee, v1
	v_fmamk_f16 v8, v11, 0x3aee, v19
	v_fmac_f16_e32 v1, 0x3aee, v12
	v_fmac_f16_e32 v19, 0xbaee, v11
	v_pack_b32_f16 v3, v3, v7
	v_pack_b32_f16 v2, v14, v2
	;; [unrolled: 1-line block ×6, first 2 shown]
	ds_write2_b32 v27, v3, v2 offset1:30
	ds_write2_b32 v27, v7, v8 offset0:70 offset1:100
	ds_write2_b32 v27, v0, v1 offset0:140 offset1:170
	s_and_saveexec_b32 s1, s0
	s_cbranch_execz .LBB0_21
; %bb.20:
	v_mul_f16_sdwa v0, v9, v6 dst_sel:DWORD dst_unused:UNUSED_PAD src0_sel:WORD_1 src1_sel:DWORD
	v_mul_f16_sdwa v1, v10, v36 dst_sel:DWORD dst_unused:UNUSED_PAD src0_sel:WORD_1 src1_sel:DWORD
	;; [unrolled: 1-line block ×4, first 2 shown]
	v_fma_f16 v0, v9, v40, -v0
	v_fma_f16 v1, v10, v41, -v1
	v_fmac_f16_e32 v2, v9, v6
	v_fmac_f16_e32 v3, v10, v36
	v_add_f16_e32 v9, v15, v0
	v_add_f16_e32 v6, v0, v1
	v_sub_f16_e32 v0, v0, v1
	v_add_f16_e32 v8, v2, v3
	v_sub_f16_e32 v7, v2, v3
	v_add_f16_e32 v2, v5, v2
	v_fma_f16 v6, -0.5, v6, v15
	v_add_f16_e32 v1, v9, v1
	v_fma_f16 v5, -0.5, v8, v5
	v_add_f16_e32 v2, v2, v3
	v_fmamk_f16 v3, v7, 0xbaee, v6
	v_fmac_f16_e32 v6, 0x3aee, v7
	v_fmamk_f16 v7, v0, 0x3aee, v5
	v_fmac_f16_e32 v5, 0xbaee, v0
	v_pack_b32_f16 v0, v2, v1
	v_pack_b32_f16 v2, v7, v3
	;; [unrolled: 1-line block ×3, first 2 shown]
	ds_write2_b32 v27, v0, v1 offset0:60 offset1:130
	ds_write_b32 v27, v2 offset:800
.LBB0_21:
	s_or_b32 exec_lo, exec_lo, s1
	s_waitcnt lgkmcnt(0)
	s_barrier
	buffer_gl0_inv
	s_and_b32 exec_lo, exec_lo, vcc_lo
	s_cbranch_execz .LBB0_23
; %bb.22:
	s_clause 0x5
	global_load_dword v0, v23, s[10:11]
	global_load_dword v2, v23, s[10:11] offset:84
	global_load_dword v8, v23, s[10:11] offset:168
	;; [unrolled: 1-line block ×5, first 2 shown]
	v_mad_u64_u32 v[10:11], null, s6, v4, 0
	ds_read_b32 v26, v27
	v_lshl_add_u32 v1, v25, 2, v23
	v_mad_u64_u32 v[12:13], null, s4, v24, 0
	s_mov_b32 s20, 0x13813814
	s_mov_b32 s21, 0x3f738138
	ds_read2_b32 v[14:15], v1 offset0:21 offset1:42
	v_mov_b32_e32 v3, v11
	ds_read2_b32 v[16:17], v1 offset0:63 offset1:84
	s_mul_i32 s0, s5, 0x54
	v_mov_b32_e32 v6, v13
	s_mul_hi_u32 s22, s4, 0x54
	v_mad_u64_u32 v[18:19], null, s7, v4, v[3:4]
	s_clause 0x1
	global_load_dword v3, v23, s[10:11] offset:504
	global_load_dword v5, v23, s[10:11] offset:588
	v_mad_u64_u32 v[19:20], null, s5, v24, v[6:7]
	s_clause 0x1
	global_load_dword v4, v23, s[10:11] offset:672
	global_load_dword v6, v23, s[10:11] offset:756
	ds_read2_b32 v[20:21], v1 offset0:105 offset1:126
	s_mul_i32 s19, s4, 0x54
	v_mov_b32_e32 v11, v18
	s_waitcnt lgkmcnt(3)
	v_lshrrev_b32_e32 v18, 16, v26
	s_add_i32 s22, s22, s0
	v_mov_b32_e32 v13, v19
	ds_read_b32 v7, v1 offset:756
	v_lshlrev_b64 v[10:11], 2, v[10:11]
	s_waitcnt lgkmcnt(3)
	v_lshrrev_b32_e32 v23, 16, v15
	v_lshrrev_b32_e32 v19, 16, v14
	s_waitcnt lgkmcnt(2)
	v_lshrrev_b32_e32 v24, 16, v16
	v_lshrrev_b32_e32 v25, 16, v17
	v_lshlrev_b64 v[12:13], 2, v[12:13]
	v_add_co_u32 v10, vcc_lo, s8, v10
	v_add_co_ci_u32_e32 v11, vcc_lo, s9, v11, vcc_lo
	v_add_co_u32 v10, vcc_lo, v10, v12
	s_waitcnt lgkmcnt(1)
	v_lshrrev_b32_e32 v37, 16, v20
	v_add_co_ci_u32_e32 v11, vcc_lo, v11, v13, vcc_lo
	v_add_co_u32 v12, vcc_lo, v10, s19
	v_add_co_ci_u32_e32 v13, vcc_lo, s22, v11, vcc_lo
	s_waitcnt vmcnt(9)
	v_mul_f16_sdwa v27, v18, v0 dst_sel:DWORD dst_unused:UNUSED_PAD src0_sel:DWORD src1_sel:WORD_1
	v_mul_f16_sdwa v28, v26, v0 dst_sel:DWORD dst_unused:UNUSED_PAD src0_sel:DWORD src1_sel:WORD_1
	s_waitcnt vmcnt(7)
	v_mul_f16_sdwa v31, v23, v8 dst_sel:DWORD dst_unused:UNUSED_PAD src0_sel:DWORD src1_sel:WORD_1
	v_mul_f16_sdwa v32, v15, v8 dst_sel:DWORD dst_unused:UNUSED_PAD src0_sel:DWORD src1_sel:WORD_1
	;; [unrolled: 1-line block ×3, first 2 shown]
	v_fmac_f16_e32 v27, v26, v0
	s_waitcnt vmcnt(6)
	v_mul_f16_sdwa v33, v24, v9 dst_sel:DWORD dst_unused:UNUSED_PAD src0_sel:DWORD src1_sel:WORD_1
	v_mul_f16_sdwa v34, v16, v9 dst_sel:DWORD dst_unused:UNUSED_PAD src0_sel:DWORD src1_sel:WORD_1
	v_fma_f16 v0, v0, v18, -v28
	v_fmac_f16_e32 v31, v15, v8
	v_fma_f16 v18, v8, v23, -v32
	v_cvt_f32_f16_e32 v8, v27
	v_mul_f16_sdwa v30, v14, v2 dst_sel:DWORD dst_unused:UNUSED_PAD src0_sel:DWORD src1_sel:WORD_1
	v_fmac_f16_e32 v29, v14, v2
	v_fmac_f16_e32 v33, v16, v9
	v_cvt_f32_f16_e32 v0, v0
	v_fma_f16 v23, v9, v24, -v34
	v_cvt_f64_f32_e32 v[8:9], v8
	s_waitcnt vmcnt(5)
	v_mul_f16_sdwa v35, v25, v22 dst_sel:DWORD dst_unused:UNUSED_PAD src0_sel:DWORD src1_sel:WORD_1
	v_fma_f16 v2, v2, v19, -v30
	v_cvt_f64_f32_e32 v[14:15], v0
	v_cvt_f32_f16_e32 v0, v29
	v_mul_f16_sdwa v38, v17, v22 dst_sel:DWORD dst_unused:UNUSED_PAD src0_sel:DWORD src1_sel:WORD_1
	s_waitcnt vmcnt(4)
	v_mul_f16_sdwa v39, v37, v36 dst_sel:DWORD dst_unused:UNUSED_PAD src0_sel:DWORD src1_sel:WORD_1
	v_fmac_f16_e32 v35, v17, v22
	v_cvt_f32_f16_e32 v2, v2
	v_cvt_f64_f32_e32 v[16:17], v0
	v_mul_f16_sdwa v40, v20, v36 dst_sel:DWORD dst_unused:UNUSED_PAD src0_sel:DWORD src1_sel:WORD_1
	v_fma_f16 v22, v22, v25, -v38
	v_fmac_f16_e32 v39, v20, v36
	v_cvt_f32_f16_e32 v20, v31
	v_cvt_f32_f16_e32 v24, v18
	v_cvt_f64_f32_e32 v[18:19], v2
	v_cvt_f32_f16_e32 v2, v23
	v_cvt_f32_f16_e32 v32, v22
	v_cvt_f64_f32_e32 v[22:23], v20
	v_cvt_f32_f16_e32 v0, v33
	v_cvt_f64_f32_e32 v[24:25], v24
	v_cvt_f32_f16_e32 v30, v35
	v_mul_f64 v[8:9], v[8:9], s[20:21]
	v_cvt_f64_f32_e32 v[28:29], v2
	v_cvt_f64_f32_e32 v[26:27], v0
	v_mul_f64 v[14:15], v[14:15], s[20:21]
	v_fma_f16 v0, v36, v37, -v40
	v_cvt_f64_f32_e32 v[30:31], v30
	v_add_co_u32 v36, vcc_lo, v12, s19
	v_add_co_ci_u32_e32 v37, vcc_lo, s22, v13, vcc_lo
	v_mul_f64 v[16:17], v[16:17], s[20:21]
	v_cvt_f32_f16_e32 v0, v0
	v_cvt_f32_f16_e32 v34, v39
	v_cvt_f64_f32_e32 v[32:33], v32
	v_add_co_u32 v38, vcc_lo, v36, s19
	v_mul_f64 v[18:19], v[18:19], s[20:21]
	v_cvt_f64_f32_e32 v[40:41], v0
	v_mul_f64 v[22:23], v[22:23], s[20:21]
	v_add_co_ci_u32_e32 v39, vcc_lo, s22, v37, vcc_lo
	v_mul_f64 v[24:25], v[24:25], s[20:21]
	v_and_or_b32 v0, 0x1ff, v9, v8
	v_cvt_f64_f32_e32 v[34:35], v34
	v_mul_f64 v[26:27], v[26:27], s[20:21]
	v_and_or_b32 v14, 0x1ff, v15, v14
	v_mul_f64 v[28:29], v[28:29], s[20:21]
	v_cmp_ne_u32_e32 vcc_lo, 0, v0
	v_mul_f64 v[30:31], v[30:31], s[20:21]
	v_lshrrev_b32_e32 v2, 8, v9
	v_bfe_u32 v8, v9, 20, 11
	v_lshrrev_b32_e32 v20, 8, v15
	v_and_or_b32 v16, 0x1ff, v17, v16
	v_cndmask_b32_e64 v0, 0, 1, vcc_lo
	v_cmp_ne_u32_e32 vcc_lo, 0, v14
	v_mul_f64 v[32:33], v[32:33], s[20:21]
	v_bfe_u32 v42, v15, 20, 11
	v_lshrrev_b32_e32 v43, 8, v17
	v_and_or_b32 v18, 0x1ff, v19, v18
	v_cndmask_b32_e64 v14, 0, 1, vcc_lo
	v_cmp_ne_u32_e32 vcc_lo, 0, v16
	v_and_or_b32 v22, 0x1ff, v23, v22
	v_and_or_b32 v0, 0xffe, v2, v0
	;; [unrolled: 1-line block ×3, first 2 shown]
	v_bfe_u32 v44, v17, 20, 11
	v_cndmask_b32_e64 v16, 0, 1, vcc_lo
	v_cmp_ne_u32_e32 vcc_lo, 0, v18
	v_mul_f64 v[34:35], v[34:35], s[20:21]
	v_and_or_b32 v26, 0x1ff, v27, v26
	v_and_or_b32 v28, 0x1ff, v29, v28
	;; [unrolled: 1-line block ×3, first 2 shown]
	v_cndmask_b32_e64 v18, 0, 1, vcc_lo
	v_cmp_ne_u32_e32 vcc_lo, 0, v22
	v_sub_nc_u32_e32 v61, 0x3f1, v8
	v_add_nc_u32_e32 v8, 0xfffffc10, v8
	v_and_or_b32 v14, 0xffe, v20, v14
	v_lshrrev_b32_e32 v45, 8, v19
	v_cndmask_b32_e64 v22, 0, 1, vcc_lo
	v_cmp_ne_u32_e32 vcc_lo, 0, v24
	v_and_or_b32 v32, 0x1ff, v33, v32
	v_bfe_u32 v46, v19, 20, 11
	v_bfe_u32 v48, v23, 20, 11
	v_sub_nc_u32_e32 v62, 0x3f1, v42
	v_cndmask_b32_e64 v24, 0, 1, vcc_lo
	v_cmp_ne_u32_e32 vcc_lo, 0, v26
	v_add_nc_u32_e32 v42, 0xfffffc10, v42
	v_sub_nc_u32_e32 v63, 0x3f1, v44
	v_med3_i32 v2, v61, 0, 13
	v_and_or_b32 v16, 0xffe, v43, v16
	v_cndmask_b32_e64 v26, 0, 1, vcc_lo
	v_cmp_ne_u32_e32 vcc_lo, 0, v28
	v_and_or_b32 v34, 0x1ff, v35, v34
	v_lshrrev_b32_e32 v59, 8, v35
	v_lshl_or_b32 v61, v8, 12, v0
	v_lshrrev_b32_e32 v47, 8, v23
	v_cndmask_b32_e64 v28, 0, 1, vcc_lo
	v_cmp_ne_u32_e32 vcc_lo, 0, v30
	v_bfe_u32 v50, v25, 20, 11
	v_bfe_u32 v52, v27, 20, 11
	v_add_nc_u32_e32 v44, 0xfffffc10, v44
	v_sub_nc_u32_e32 v64, 0x3f1, v46
	v_cndmask_b32_e64 v30, 0, 1, vcc_lo
	v_cmp_ne_u32_e32 vcc_lo, 0, v32
	v_sub_nc_u32_e32 v65, 0x3f1, v48
	v_med3_i32 v20, v62, 0, 13
	v_med3_i32 v43, v63, 0, 13
	v_and_or_b32 v18, 0xffe, v45, v18
	v_cndmask_b32_e64 v32, 0, 1, vcc_lo
	v_cmp_ne_u32_e32 vcc_lo, 0, v34
	v_or_b32_e32 v62, 0x1000, v14
	v_lshl_or_b32 v63, v42, 12, v14
	v_lshrrev_b32_e32 v49, 8, v25
	v_lshrrev_b32_e32 v51, 8, v27
	v_cndmask_b32_e64 v34, 0, 1, vcc_lo
	v_cmp_ne_u32_e32 vcc_lo, 0, v0
	v_bfe_u32 v54, v29, 20, 11
	v_bfe_u32 v56, v31, 20, 11
	v_add_nc_u32_e32 v46, 0xfffffc10, v46
	v_and_or_b32 v34, 0xffe, v59, v34
	v_or_b32_e32 v59, 0x1000, v0
	v_cndmask_b32_e64 v0, 0, 1, vcc_lo
	v_cmp_ne_u32_e32 vcc_lo, 0, v14
	v_sub_nc_u32_e32 v66, 0x3f1, v50
	v_sub_nc_u32_e32 v67, 0x3f1, v52
	v_med3_i32 v45, v64, 0, 13
	v_and_or_b32 v22, 0xffe, v47, v22
	v_cndmask_b32_e64 v14, 0, 1, vcc_lo
	v_cmp_ne_u32_e32 vcc_lo, 0, v16
	v_med3_i32 v47, v65, 0, 13
	v_or_b32_e32 v64, 0x1000, v16
	v_lshl_or_b32 v65, v44, 12, v16
	v_lshrrev_b32_e32 v53, 8, v29
	v_cndmask_b32_e64 v16, 0, 1, vcc_lo
	v_cmp_ne_u32_e32 vcc_lo, 0, v18
	v_lshrrev_b32_e32 v55, 8, v31
	v_bfe_u32 v58, v33, 20, 11
	v_add_nc_u32_e32 v48, 0xfffffc10, v48
	v_sub_nc_u32_e32 v68, 0x3f1, v54
	v_sub_nc_u32_e32 v69, 0x3f1, v56
	v_and_or_b32 v24, 0xffe, v49, v24
	v_med3_i32 v49, v66, 0, 13
	v_and_or_b32 v26, 0xffe, v51, v26
	v_med3_i32 v51, v67, 0, 13
	v_or_b32_e32 v66, 0x1000, v18
	v_lshl_or_b32 v67, v46, 12, v18
	v_cndmask_b32_e64 v18, 0, 1, vcc_lo
	v_cmp_ne_u32_e32 vcc_lo, 0, v22
	v_lshrrev_b32_e32 v57, 8, v33
	v_add_nc_u32_e32 v50, 0xfffffc10, v50
	v_sub_nc_u32_e32 v70, 0x3f1, v58
	v_and_or_b32 v28, 0xffe, v53, v28
	v_med3_i32 v53, v68, 0, 13
	v_and_or_b32 v30, 0xffe, v55, v30
	v_med3_i32 v55, v69, 0, 13
	v_or_b32_e32 v68, 0x1000, v22
	v_lshl_or_b32 v69, v48, 12, v22
	v_cndmask_b32_e64 v22, 0, 1, vcc_lo
	v_cmp_ne_u32_e32 vcc_lo, 0, v24
	v_add_nc_u32_e32 v52, 0xfffffc10, v52
	v_and_or_b32 v32, 0xffe, v57, v32
	v_med3_i32 v57, v70, 0, 13
	v_or_b32_e32 v70, 0x1000, v24
	v_lshl_or_b32 v72, v50, 12, v24
	v_cndmask_b32_e64 v24, 0, 1, vcc_lo
	v_cmp_ne_u32_e32 vcc_lo, 0, v26
	v_add_nc_u32_e32 v54, 0xfffffc10, v54
	v_or_b32_e32 v73, 0x1000, v26
	v_lshl_or_b32 v74, v52, 12, v26
	v_lshrrev_b32_e32 v82, v20, v62
	v_cndmask_b32_e64 v26, 0, 1, vcc_lo
	v_cmp_ne_u32_e32 vcc_lo, 0, v28
	v_add_nc_u32_e32 v56, 0xfffffc10, v56
	v_or_b32_e32 v75, 0x1000, v28
	v_lshl_or_b32 v76, v54, 12, v28
	v_lshrrev_b32_e32 v81, v2, v59
	v_cndmask_b32_e64 v28, 0, 1, vcc_lo
	v_cmp_ne_u32_e32 vcc_lo, 0, v30
	v_lshrrev_b32_e32 v83, v43, v64
	v_lshlrev_b32_e32 v20, v20, v82
	v_or_b32_e32 v77, 0x1000, v30
	v_lshl_or_b32 v78, v56, 12, v30
	v_cndmask_b32_e64 v30, 0, 1, vcc_lo
	v_lshrrev_b32_e32 v84, v45, v66
	v_cmp_ne_u32_e32 vcc_lo, v20, v62
	v_lshlrev_b32_e32 v2, v2, v81
	v_lshlrev_b32_e32 v43, v43, v83
	v_lshrrev_b32_e32 v85, v47, v68
	v_lshlrev_b32_e32 v45, v45, v84
	v_lshrrev_b32_e32 v86, v49, v70
	v_cmp_ne_u32_e64 s0, v2, v59
	v_cndmask_b32_e64 v59, 0, 1, vcc_lo
	v_cmp_ne_u32_e32 vcc_lo, v43, v64
	v_lshlrev_b32_e32 v47, v47, v85
	v_lshrrev_b32_e32 v87, v51, v73
	v_lshlrev_b32_e32 v49, v49, v86
	v_lshrrev_b32_e32 v88, v53, v75
	v_cndmask_b32_e64 v43, 0, 1, vcc_lo
	v_cmp_ne_u32_e32 vcc_lo, v45, v66
	v_lshlrev_b32_e32 v51, v51, v87
	v_or_b32_e32 v79, 0x1000, v32
	v_lshrrev_b32_e32 v20, v55, v77
	v_lshlrev_b32_e32 v53, v53, v88
	v_cndmask_b32_e64 v45, 0, 1, vcc_lo
	v_cmp_ne_u32_e32 vcc_lo, v47, v68
	v_lshrrev_b32_e32 v62, v57, v79
	v_lshlrev_b32_e32 v55, v55, v20
	v_cndmask_b32_e64 v2, 0, 1, s0
	v_or_b32_e32 v59, v82, v59
	v_cndmask_b32_e64 v47, 0, 1, vcc_lo
	v_cmp_ne_u32_e32 vcc_lo, v49, v70
	v_lshlrev_b32_e32 v57, v57, v62
	v_or_b32_e32 v2, v81, v2
	v_or_b32_e32 v43, v83, v43
	;; [unrolled: 1-line block ×3, first 2 shown]
	v_cndmask_b32_e64 v49, 0, 1, vcc_lo
	v_cmp_ne_u32_e32 vcc_lo, v51, v73
	v_or_b32_e32 v47, v85, v47
	v_add_nc_u32_e32 v58, 0xfffffc10, v58
	v_lshl_or_b32 v0, v0, 9, 0x7c00
	v_or_b32_e32 v49, v86, v49
	v_cndmask_b32_e64 v51, 0, 1, vcc_lo
	v_cmp_ne_u32_e32 vcc_lo, v53, v75
	v_lshl_or_b32 v80, v58, 12, v32
	v_lshl_or_b32 v14, v14, 9, 0x7c00
	v_lshl_or_b32 v16, v16, 9, 0x7c00
	v_or_b32_e32 v51, v87, v51
	v_cndmask_b32_e64 v53, 0, 1, vcc_lo
	v_cmp_ne_u32_e32 vcc_lo, v55, v77
	v_lshl_or_b32 v18, v18, 9, 0x7c00
	v_lshl_or_b32 v22, v22, 9, 0x7c00
	v_lshrrev_b32_e32 v9, 16, v9
	v_or_b32_e32 v53, v88, v53
	v_cndmask_b32_e64 v55, 0, 1, vcc_lo
	v_cmp_ne_u32_e32 vcc_lo, v57, v79
	v_lshrrev_b32_e32 v17, 16, v17
	v_lshrrev_b32_e32 v19, 16, v19
	;; [unrolled: 1-line block ×3, first 2 shown]
	v_or_b32_e32 v20, v20, v55
	v_cndmask_b32_e64 v57, 0, 1, vcc_lo
	v_cmp_gt_i32_e32 vcc_lo, 1, v8
	v_lshl_or_b32 v24, v24, 9, 0x7c00
	v_lshrrev_b32_e32 v15, 16, v15
	v_lshrrev_b32_e32 v25, 16, v25
	v_or_b32_e32 v55, v62, v57
	v_cndmask_b32_e32 v2, v61, v2, vcc_lo
	v_cmp_gt_i32_e32 vcc_lo, 1, v42
	v_lshl_or_b32 v26, v26, 9, 0x7c00
	v_lshrrev_b32_e32 v27, 16, v27
	v_lshl_or_b32 v28, v28, 9, 0x7c00
	v_bfe_u32 v60, v35, 20, 11
	v_cndmask_b32_e32 v57, v63, v59, vcc_lo
	v_cmp_gt_i32_e32 vcc_lo, 1, v44
	v_and_b32_e32 v59, 7, v2
	v_lshrrev_b32_e32 v2, 2, v2
	v_lshrrev_b32_e32 v29, 16, v29
	v_and_b32_e32 v61, 7, v57
	v_cndmask_b32_e32 v43, v65, v43, vcc_lo
	v_cmp_gt_i32_e32 vcc_lo, 1, v46
	v_cmp_eq_u32_e64 s0, 3, v59
	v_lshrrev_b32_e32 v57, 2, v57
	v_cmp_lt_i32_e64 s1, 5, v61
	v_and_b32_e32 v62, 7, v43
	v_cndmask_b32_e32 v45, v67, v45, vcc_lo
	v_cmp_gt_i32_e32 vcc_lo, 1, v48
	v_cmp_eq_u32_e64 s2, 3, v61
	v_lshrrev_b32_e32 v43, 2, v43
	v_cmp_lt_i32_e64 s3, 5, v62
	v_and_b32_e32 v63, 7, v45
	v_cndmask_b32_e32 v47, v69, v47, vcc_lo
	v_cmp_gt_i32_e32 vcc_lo, 1, v50
	v_cmp_eq_u32_e64 s4, 3, v62
	v_lshrrev_b32_e32 v45, 2, v45
	v_cmp_lt_i32_e64 s5, 5, v63
	v_and_b32_e32 v64, 7, v47
	v_cndmask_b32_e32 v49, v72, v49, vcc_lo
	v_cmp_gt_i32_e32 vcc_lo, 1, v52
	v_cmp_eq_u32_e64 s6, 3, v63
	v_lshrrev_b32_e32 v47, 2, v47
	v_cmp_lt_i32_e64 s7, 5, v64
	v_and_b32_e32 v65, 7, v49
	v_cndmask_b32_e32 v51, v74, v51, vcc_lo
	v_cmp_gt_i32_e32 vcc_lo, 1, v54
	v_cmp_eq_u32_e64 s8, 3, v64
	v_lshrrev_b32_e32 v49, 2, v49
	v_cmp_lt_i32_e64 s9, 5, v65
	v_and_b32_e32 v66, 7, v51
	v_cndmask_b32_e32 v53, v76, v53, vcc_lo
	v_cmp_gt_i32_e32 vcc_lo, 1, v56
	v_cmp_eq_u32_e64 s10, 3, v65
	v_lshrrev_b32_e32 v51, 2, v51
	v_cmp_lt_i32_e64 s11, 5, v66
	v_and_b32_e32 v67, 7, v53
	v_cndmask_b32_e32 v20, v78, v20, vcc_lo
	v_cmp_gt_i32_e32 vcc_lo, 1, v58
	v_cmp_eq_u32_e64 s12, 3, v66
	v_lshrrev_b32_e32 v53, 2, v53
	v_cmp_lt_i32_e64 s13, 5, v67
	v_and_b32_e32 v68, 7, v20
	v_cndmask_b32_e32 v55, v80, v55, vcc_lo
	v_cmp_lt_i32_e32 vcc_lo, 5, v59
	v_cmp_eq_u32_e64 s14, 3, v67
	v_lshrrev_b32_e32 v20, 2, v20
	v_cmp_lt_i32_e64 s15, 5, v68
	v_cmp_eq_u32_e64 s16, 3, v68
	s_or_b32 vcc_lo, s0, vcc_lo
	v_and_b32_e32 v69, 7, v55
	v_add_co_ci_u32_e32 v2, vcc_lo, 0, v2, vcc_lo
	s_or_b32 vcc_lo, s2, s1
	v_lshl_or_b32 v30, v30, 9, 0x7c00
	v_add_co_ci_u32_e32 v57, vcc_lo, 0, v57, vcc_lo
	s_or_b32 vcc_lo, s4, s3
	v_cmp_lt_i32_e64 s17, 5, v69
	v_add_co_ci_u32_e32 v43, vcc_lo, 0, v43, vcc_lo
	s_or_b32 vcc_lo, s6, s5
	v_cmp_eq_u32_e64 s18, 3, v69
	v_add_co_ci_u32_e32 v45, vcc_lo, 0, v45, vcc_lo
	s_or_b32 vcc_lo, s8, s7
	v_sub_nc_u32_e32 v71, 0x3f1, v60
	v_add_co_ci_u32_e32 v47, vcc_lo, 0, v47, vcc_lo
	s_or_b32 vcc_lo, s10, s9
	v_lshrrev_b32_e32 v31, 16, v31
	v_add_co_ci_u32_e32 v49, vcc_lo, 0, v49, vcc_lo
	s_or_b32 vcc_lo, s12, s11
	v_add_co_ci_u32_e32 v51, vcc_lo, 0, v51, vcc_lo
	s_or_b32 vcc_lo, s14, s13
	;; [unrolled: 2-line block ×3, first 2 shown]
	v_add_co_ci_u32_e32 v20, vcc_lo, 0, v20, vcc_lo
	v_cmp_gt_i32_e32 vcc_lo, 31, v8
	v_cndmask_b32_e32 v2, 0x7c00, v2, vcc_lo
	v_cmp_gt_i32_e32 vcc_lo, 31, v42
	v_cndmask_b32_e32 v57, 0x7c00, v57, vcc_lo
	;; [unrolled: 2-line block ×9, first 2 shown]
	v_cmp_eq_u32_e32 vcc_lo, 0x40f, v8
	v_cndmask_b32_e32 v0, v2, v0, vcc_lo
	v_cmp_eq_u32_e32 vcc_lo, 0x40f, v42
	v_and_or_b32 v0, 0x8000, v9, v0
	v_cndmask_b32_e32 v2, v57, v14, vcc_lo
	v_cmp_eq_u32_e32 vcc_lo, 0x40f, v44
	v_and_b32_e32 v0, 0xffff, v0
	v_and_or_b32 v2, 0x8000, v15, v2
	v_cndmask_b32_e32 v8, v43, v16, vcc_lo
	v_cmp_eq_u32_e32 vcc_lo, 0x40f, v46
	v_lshl_or_b32 v0, v2, 16, v0
	v_and_or_b32 v8, 0x8000, v17, v8
	v_cndmask_b32_e32 v14, v45, v18, vcc_lo
	v_cmp_eq_u32_e32 vcc_lo, 0x40f, v48
	v_and_b32_e32 v8, 0xffff, v8
	v_and_or_b32 v9, 0x8000, v19, v14
	v_cndmask_b32_e32 v16, v47, v22, vcc_lo
	v_cmp_eq_u32_e32 vcc_lo, 0x40f, v50
	v_lshl_or_b32 v2, v9, 16, v8
	v_and_or_b32 v14, 0x8000, v23, v16
	v_cndmask_b32_e32 v18, v49, v24, vcc_lo
	v_cmp_eq_u32_e32 vcc_lo, 0x40f, v52
	v_and_b32_e32 v14, 0xffff, v14
	v_and_or_b32 v15, 0x8000, v25, v18
	v_cndmask_b32_e32 v22, v51, v26, vcc_lo
	v_cmp_eq_u32_e32 vcc_lo, 0x40f, v54
	v_add_nc_u32_e32 v18, 0xfffffc10, v60
	v_lshl_or_b32 v8, v15, 16, v14
	v_and_or_b32 v16, 0x8000, v27, v22
	v_cndmask_b32_e32 v24, v53, v28, vcc_lo
	v_cmp_eq_u32_e32 vcc_lo, 0x40f, v56
	global_store_dword v[10:11], v0, off
	global_store_dword v[12:13], v2, off
	;; [unrolled: 1-line block ×3, first 2 shown]
	v_mul_f64 v[8:9], v[40:41], s[20:21]
	v_lshrrev_b32_e32 v0, 2, v55
	v_and_or_b32 v17, 0x8000, v29, v24
	v_and_b32_e32 v16, 0xffff, v16
	v_cndmask_b32_e32 v14, v20, v30, vcc_lo
	s_or_b32 vcc_lo, s18, s17
	v_or_b32_e32 v2, 0x1000, v34
	v_add_co_ci_u32_e32 v0, vcc_lo, 0, v0, vcc_lo
	v_med3_i32 v10, v71, 0, 13
	v_cmp_ne_u32_e32 vcc_lo, 0, v32
	v_lshl_or_b32 v15, v17, 16, v16
	v_lshrrev_b32_e32 v16, 16, v21
	v_lshrrev_b32_e32 v17, 16, v33
	;; [unrolled: 1-line block ×3, first 2 shown]
	v_cndmask_b32_e64 v11, 0, 1, vcc_lo
	v_cmp_gt_i32_e32 vcc_lo, 31, v58
	s_waitcnt vmcnt(3)
	v_mul_f16_sdwa v13, v16, v3 dst_sel:DWORD dst_unused:UNUSED_PAD src0_sel:DWORD src1_sel:WORD_1
	v_and_or_b32 v14, 0x8000, v31, v14
	v_lshlrev_b32_e32 v10, v10, v12
	v_lshl_or_b32 v11, v11, 9, 0x7c00
	v_cndmask_b32_e32 v0, 0x7c00, v0, vcc_lo
	v_cmp_eq_u32_e32 vcc_lo, 0x40f, v58
	v_fmac_f16_e32 v13, v21, v3
	v_and_or_b32 v8, 0x1ff, v9, v8
	v_and_b32_e32 v14, 0xffff, v14
	global_store_dword v[38:39], v15, off
	v_cndmask_b32_e32 v0, v0, v11, vcc_lo
	v_cmp_ne_u32_e32 vcc_lo, v10, v2
	v_cvt_f32_f16_e32 v11, v13
	v_lshrrev_b32_e32 v13, 8, v9
	v_mul_f16_sdwa v21, v21, v3 dst_sel:DWORD dst_unused:UNUSED_PAD src0_sel:DWORD src1_sel:WORD_1
	v_and_or_b32 v0, 0x8000, v17, v0
	v_cndmask_b32_e64 v2, 0, 1, vcc_lo
	v_cmp_ne_u32_e32 vcc_lo, 0, v8
	v_cvt_f64_f32_e32 v[10:11], v11
	v_bfe_u32 v17, v9, 20, 11
	v_lshl_or_b32 v0, v0, 16, v14
	v_or_b32_e32 v2, v12, v2
	v_lshl_or_b32 v12, v18, 12, v34
	v_cndmask_b32_e64 v8, 0, 1, vcc_lo
	v_cmp_gt_i32_e32 vcc_lo, 1, v18
	v_fma_f16 v3, v3, v16, -v21
	v_add_nc_u32_e32 v16, 0xfffffc10, v17
	v_lshrrev_b32_e32 v9, 16, v9
	v_and_or_b32 v8, 0xffe, v13, v8
	v_cndmask_b32_e32 v2, v12, v2, vcc_lo
	v_sub_nc_u32_e32 v12, 0x3f1, v17
	v_or_b32_e32 v15, 0x1000, v8
	v_and_b32_e32 v14, 7, v2
	v_med3_i32 v19, v12, 0, 13
	v_add_co_u32 v12, vcc_lo, v38, s19
	v_add_co_ci_u32_e32 v13, vcc_lo, s22, v39, vcc_lo
	v_lshrrev_b32_e32 v20, v19, v15
	v_cmp_lt_i32_e32 vcc_lo, 5, v14
	v_cmp_eq_u32_e64 s0, 3, v14
	v_mul_f64 v[10:11], v[10:11], s[20:21]
	global_store_dword v[12:13], v0, off
	v_lshrrev_b32_e32 v0, 2, v2
	v_lshlrev_b32_e32 v2, v19, v20
	s_or_b32 vcc_lo, s0, vcc_lo
	v_lshl_or_b32 v19, v16, 12, v8
	v_add_co_u32 v12, s1, v12, s19
	v_add_co_ci_u32_e32 v14, vcc_lo, 0, v0, vcc_lo
	v_cmp_ne_u32_e32 vcc_lo, v2, v15
	v_cvt_f32_f16_e32 v2, v3
	ds_read2_b32 v[0:1], v1 offset0:147 offset1:168
	v_add_co_ci_u32_e64 v13, s1, s22, v13, s1
	v_cndmask_b32_e64 v15, 0, 1, vcc_lo
	v_cmp_ne_u32_e32 vcc_lo, 0, v34
	v_cvt_f64_f32_e32 v[2:3], v2
	v_or_b32_e32 v15, v20, v15
	v_cndmask_b32_e64 v17, 0, 1, vcc_lo
	v_cmp_gt_i32_e32 vcc_lo, 31, v18
	v_and_or_b32 v10, 0x1ff, v11, v10
	v_bfe_u32 v20, v11, 20, 11
	v_lshl_or_b32 v17, v17, 9, 0x7c00
	v_cndmask_b32_e32 v14, 0x7c00, v14, vcc_lo
	v_cmp_gt_i32_e32 vcc_lo, 1, v16
	s_waitcnt lgkmcnt(0)
	v_lshrrev_b32_e32 v21, 16, v0
	v_cndmask_b32_e32 v15, v19, v15, vcc_lo
	v_cmp_ne_u32_e32 vcc_lo, 0, v10
	v_lshrrev_b32_e32 v19, 8, v11
	s_waitcnt vmcnt(2)
	v_mul_f16_sdwa v23, v21, v5 dst_sel:DWORD dst_unused:UNUSED_PAD src0_sel:DWORD src1_sel:WORD_1
	v_cndmask_b32_e64 v10, 0, 1, vcc_lo
	v_cmp_eq_u32_e32 vcc_lo, 0x40f, v18
	v_lshrrev_b32_e32 v18, 16, v35
	v_mul_f64 v[2:3], v[2:3], s[20:21]
	v_fmac_f16_e32 v23, v0, v5
	v_and_or_b32 v10, 0xffe, v19, v10
	v_cndmask_b32_e32 v14, v14, v17, vcc_lo
	v_and_b32_e32 v17, 7, v15
	v_sub_nc_u32_e32 v19, 0x3f1, v20
	v_add_nc_u32_e32 v20, 0xfffffc10, v20
	v_or_b32_e32 v22, 0x1000, v10
	v_mul_f16_sdwa v0, v0, v5 dst_sel:DWORD dst_unused:UNUSED_PAD src0_sel:DWORD src1_sel:WORD_1
	v_cmp_lt_i32_e32 vcc_lo, 5, v17
	v_cmp_eq_u32_e64 s0, 3, v17
	v_and_or_b32 v17, 0x8000, v18, v14
	v_lshrrev_b32_e32 v14, 2, v15
	v_med3_i32 v19, v19, 0, 13
	v_cvt_f32_f16_e32 v15, v23
	s_or_b32 vcc_lo, s0, vcc_lo
	v_and_b32_e32 v17, 0xffff, v17
	v_add_co_ci_u32_e32 v14, vcc_lo, 0, v14, vcc_lo
	v_lshrrev_b32_e32 v18, v19, v22
	v_cmp_ne_u32_e32 vcc_lo, 0, v8
	v_fma_f16 v0, v5, v21, -v0
	v_and_or_b32 v2, 0x1ff, v3, v2
	v_lshlrev_b32_e32 v19, v19, v18
	v_cndmask_b32_e64 v8, 0, 1, vcc_lo
	v_cmp_gt_i32_e32 vcc_lo, 31, v16
	v_cvt_f32_f16_e32 v0, v0
	v_lshl_or_b32 v8, v8, 9, 0x7c00
	v_cndmask_b32_e32 v23, 0x7c00, v14, vcc_lo
	v_cmp_ne_u32_e32 vcc_lo, v19, v22
	v_cvt_f64_f32_e32 v[14:15], v15
	v_bfe_u32 v22, v3, 20, 11
	v_cndmask_b32_e64 v19, 0, 1, vcc_lo
	v_cmp_eq_u32_e32 vcc_lo, 0x40f, v16
	v_or_b32_e32 v16, v18, v19
	v_cndmask_b32_e32 v8, v23, v8, vcc_lo
	v_cmp_ne_u32_e32 vcc_lo, 0, v2
	v_lshrrev_b32_e32 v19, 8, v3
	v_lshl_or_b32 v18, v20, 12, v10
	v_cndmask_b32_e64 v2, 0, 1, vcc_lo
	v_cmp_gt_i32_e32 vcc_lo, 1, v20
	v_and_or_b32 v2, 0xffe, v19, v2
	v_sub_nc_u32_e32 v19, 0x3f1, v22
	v_cndmask_b32_e32 v16, v18, v16, vcc_lo
	v_and_or_b32 v18, 0x8000, v9, v8
	v_mul_f64 v[8:9], v[14:15], s[20:21]
	v_or_b32_e32 v24, 0x1000, v2
	v_med3_i32 v14, v19, 0, 13
	v_and_b32_e32 v23, 7, v16
	v_lshl_or_b32 v17, v18, 16, v17
	v_lshrrev_b32_e32 v5, 2, v16
	v_lshrrev_b32_e32 v18, v14, v24
	v_cmp_lt_i32_e32 vcc_lo, 5, v23
	v_cmp_eq_u32_e64 s0, 3, v23
	v_lshlrev_b32_e32 v14, v14, v18
	s_or_b32 vcc_lo, s0, vcc_lo
	v_add_co_ci_u32_e32 v5, vcc_lo, 0, v5, vcc_lo
	v_cmp_ne_u32_e32 vcc_lo, v14, v24
	v_cvt_f64_f32_e32 v[14:15], v0
	v_add_nc_u32_e32 v0, 0xfffffc10, v22
	v_and_or_b32 v8, 0x1ff, v9, v8
	v_cndmask_b32_e64 v16, 0, 1, vcc_lo
	v_cmp_gt_i32_e32 vcc_lo, 31, v20
	v_lshrrev_b32_e32 v19, 8, v9
	v_bfe_u32 v21, v9, 20, 11
	v_lshrrev_b32_e32 v9, 16, v9
	v_or_b32_e32 v16, v18, v16
	v_cndmask_b32_e32 v5, 0x7c00, v5, vcc_lo
	v_cmp_ne_u32_e32 vcc_lo, 0, v8
	v_lshl_or_b32 v18, v0, 12, v2
	v_cndmask_b32_e64 v8, 0, 1, vcc_lo
	v_cmp_ne_u32_e32 vcc_lo, 0, v10
	v_and_or_b32 v8, 0xffe, v19, v8
	v_cndmask_b32_e64 v10, 0, 1, vcc_lo
	v_cmp_gt_i32_e32 vcc_lo, 1, v0
	v_lshrrev_b32_e32 v19, 16, v1
	v_mul_f64 v[14:15], v[14:15], s[20:21]
	v_or_b32_e32 v23, 0x1000, v8
	v_lshl_or_b32 v10, v10, 9, 0x7c00
	v_cndmask_b32_e32 v16, v18, v16, vcc_lo
	v_sub_nc_u32_e32 v18, 0x3f1, v21
	v_cmp_eq_u32_e32 vcc_lo, 0x40f, v20
	s_waitcnt vmcnt(1)
	v_mul_f16_sdwa v24, v19, v4 dst_sel:DWORD dst_unused:UNUSED_PAD src0_sel:DWORD src1_sel:WORD_1
	v_add_nc_u32_e32 v21, 0xfffffc10, v21
	v_and_b32_e32 v22, 7, v16
	v_med3_i32 v18, v18, 0, 13
	v_cndmask_b32_e32 v5, v5, v10, vcc_lo
	v_lshrrev_b32_e32 v10, 16, v11
	v_fmac_f16_e32 v24, v1, v4
	v_cmp_lt_i32_e32 vcc_lo, 5, v22
	v_lshrrev_b32_e32 v20, v18, v23
	v_cmp_eq_u32_e64 s0, 3, v22
	v_and_or_b32 v5, 0x8000, v10, v5
	v_lshrrev_b32_e32 v10, 2, v16
	v_cvt_f32_f16_e32 v16, v24
	v_lshlrev_b32_e32 v11, v18, v20
	s_or_b32 vcc_lo, s0, vcc_lo
	v_and_b32_e32 v5, 0xffff, v5
	v_add_co_ci_u32_e32 v18, vcc_lo, 0, v10, vcc_lo
	v_cmp_ne_u32_e32 vcc_lo, v11, v23
	v_cvt_f64_f32_e32 v[10:11], v16
	v_and_or_b32 v14, 0x1ff, v15, v14
	v_mul_f16_sdwa v1, v1, v4 dst_sel:DWORD dst_unused:UNUSED_PAD src0_sel:DWORD src1_sel:WORD_1
	v_cndmask_b32_e64 v22, 0, 1, vcc_lo
	v_cmp_ne_u32_e32 vcc_lo, 0, v2
	v_fma_f16 v1, v4, v19, -v1
	v_or_b32_e32 v16, v20, v22
	v_cndmask_b32_e64 v2, 0, 1, vcc_lo
	v_cmp_gt_i32_e32 vcc_lo, 31, v0
	v_lshl_or_b32 v20, v21, 12, v8
	v_bfe_u32 v22, v15, 20, 11
	v_lshl_or_b32 v2, v2, 9, 0x7c00
	v_cndmask_b32_e32 v18, 0x7c00, v18, vcc_lo
	v_cmp_gt_i32_e32 vcc_lo, 1, v21
	v_cndmask_b32_e32 v16, v20, v16, vcc_lo
	v_cmp_ne_u32_e32 vcc_lo, 0, v14
	v_lshrrev_b32_e32 v20, 8, v15
	v_and_b32_e32 v23, 7, v16
	v_cndmask_b32_e64 v14, 0, 1, vcc_lo
	v_cmp_eq_u32_e32 vcc_lo, 0x40f, v0
	v_lshrrev_b32_e32 v16, 2, v16
	v_cmp_eq_u32_e64 s0, 3, v23
	v_and_or_b32 v14, 0xffe, v20, v14
	v_cndmask_b32_e32 v0, v18, v2, vcc_lo
	v_sub_nc_u32_e32 v18, 0x3f1, v22
	v_cmp_lt_i32_e32 vcc_lo, 5, v23
	v_lshrrev_b32_e32 v20, 16, v3
	v_mul_f64 v[2:3], v[10:11], s[20:21]
	v_or_b32_e32 v10, 0x1000, v14
	v_med3_i32 v11, v18, 0, 13
	s_or_b32 vcc_lo, s0, vcc_lo
	v_and_or_b32 v0, 0x8000, v20, v0
	v_add_co_ci_u32_e32 v16, vcc_lo, 0, v16, vcc_lo
	v_lshrrev_b32_e32 v18, v11, v10
	v_cmp_ne_u32_e32 vcc_lo, 0, v8
	v_lshl_or_b32 v20, v0, 16, v5
	v_lshlrev_b32_e32 v0, v11, v18
	v_cndmask_b32_e64 v8, 0, 1, vcc_lo
	v_cmp_gt_i32_e32 vcc_lo, 31, v21
	v_lshl_or_b32 v8, v8, 9, 0x7c00
	v_cndmask_b32_e32 v5, 0x7c00, v16, vcc_lo
	v_cmp_ne_u32_e32 vcc_lo, v0, v10
	v_add_nc_u32_e32 v10, 0xfffffc10, v22
	v_and_or_b32 v2, 0x1ff, v3, v2
	v_lshrrev_b32_e32 v11, 8, v3
	v_bfe_u32 v16, v3, 20, 11
	v_cndmask_b32_e64 v0, 0, 1, vcc_lo
	v_cmp_eq_u32_e32 vcc_lo, 0x40f, v21
	v_lshrrev_b32_e32 v3, 16, v3
	v_or_b32_e32 v4, v18, v0
	v_cndmask_b32_e32 v8, v5, v8, vcc_lo
	v_cmp_ne_u32_e32 vcc_lo, 0, v2
	v_cvt_f32_f16_e32 v0, v1
	v_lshl_or_b32 v5, v10, 12, v14
	v_and_or_b32 v24, 0x8000, v9, v8
	v_cndmask_b32_e64 v2, 0, 1, vcc_lo
	v_cmp_gt_i32_e32 vcc_lo, 1, v10
	v_cvt_f64_f32_e32 v[0:1], v0
	v_and_or_b32 v2, 0xffe, v11, v2
	v_cndmask_b32_e32 v18, v5, v4, vcc_lo
	v_sub_nc_u32_e32 v4, 0x3f1, v16
	v_lshrrev_b32_e32 v11, 16, v7
	v_add_nc_u32_e32 v16, 0xfffffc10, v16
	v_or_b32_e32 v21, 0x1000, v2
	v_and_b32_e32 v19, 7, v18
	v_med3_i32 v22, v4, 0, 13
	s_waitcnt vmcnt(0)
	v_mul_f16_sdwa v23, v11, v6 dst_sel:DWORD dst_unused:UNUSED_PAD src0_sel:DWORD src1_sel:WORD_1
	v_add_co_u32 v4, vcc_lo, v12, s19
	v_add_co_ci_u32_e32 v5, vcc_lo, s22, v13, vcc_lo
	v_lshrrev_b32_e32 v25, v22, v21
	v_fmac_f16_e32 v23, v7, v6
	v_cmp_lt_i32_e32 vcc_lo, 5, v19
	v_cmp_eq_u32_e64 s0, 3, v19
	v_lshrrev_b32_e32 v8, 2, v18
	v_lshlrev_b32_e32 v18, v22, v25
	v_cvt_f32_f16_e32 v9, v23
	v_mul_f64 v[0:1], v[0:1], s[20:21]
	s_or_b32 vcc_lo, s0, vcc_lo
	v_mul_f16_sdwa v7, v7, v6 dst_sel:DWORD dst_unused:UNUSED_PAD src0_sel:DWORD src1_sel:WORD_1
	v_add_co_ci_u32_e32 v19, vcc_lo, 0, v8, vcc_lo
	v_cmp_ne_u32_e32 vcc_lo, v18, v21
	v_cvt_f64_f32_e32 v[8:9], v9
	v_lshl_or_b32 v21, v16, 12, v2
	v_fma_f16 v6, v6, v11, -v7
	v_cndmask_b32_e64 v18, 0, 1, vcc_lo
	v_cmp_ne_u32_e32 vcc_lo, 0, v14
	v_cvt_f32_f16_e32 v6, v6
	v_or_b32_e32 v18, v25, v18
	v_cndmask_b32_e64 v14, 0, 1, vcc_lo
	v_cmp_gt_i32_e32 vcc_lo, 31, v10
	v_lshl_or_b32 v11, v14, 9, 0x7c00
	v_cndmask_b32_e32 v7, 0x7c00, v19, vcc_lo
	v_cmp_gt_i32_e32 vcc_lo, 1, v16
	v_and_or_b32 v0, 0x1ff, v1, v0
	v_bfe_u32 v19, v1, 20, 11
	v_cndmask_b32_e32 v14, v21, v18, vcc_lo
	v_cmp_eq_u32_e32 vcc_lo, 0x40f, v10
	v_mul_f64 v[8:9], v[8:9], s[20:21]
	v_lshrrev_b32_e32 v18, 8, v1
	v_lshrrev_b32_e32 v1, 16, v1
	v_cndmask_b32_e32 v10, v7, v11, vcc_lo
	v_lshrrev_b32_e32 v11, 16, v15
	v_cvt_f64_f32_e32 v[6:7], v6
	v_cmp_ne_u32_e32 vcc_lo, 0, v0
	v_and_b32_e32 v15, 7, v14
	v_and_or_b32 v10, 0x8000, v11, v10
	v_and_b32_e32 v11, 0xffff, v24
	v_cndmask_b32_e64 v0, 0, 1, vcc_lo
	v_cmp_lt_i32_e32 vcc_lo, 5, v15
	v_cmp_eq_u32_e64 s0, 3, v15
	v_lshl_or_b32 v10, v10, 16, v11
	v_lshrrev_b32_e32 v11, 2, v14
	v_and_or_b32 v0, 0xffe, v18, v0
	v_sub_nc_u32_e32 v18, 0x3f1, v19
	s_or_b32 vcc_lo, s0, vcc_lo
	v_add_co_ci_u32_e32 v11, vcc_lo, 0, v11, vcc_lo
	v_or_b32_e32 v14, 0x1000, v0
	v_med3_i32 v15, v18, 0, 13
	v_cmp_ne_u32_e32 vcc_lo, 0, v2
	v_and_or_b32 v8, 0x1ff, v9, v8
	v_mul_f64 v[6:7], v[6:7], s[20:21]
	v_lshrrev_b32_e32 v21, 8, v9
	v_lshrrev_b32_e32 v18, v15, v14
	v_cndmask_b32_e64 v2, 0, 1, vcc_lo
	v_cmp_gt_i32_e32 vcc_lo, 31, v16
	v_bfe_u32 v22, v9, 20, 11
	v_lshrrev_b32_e32 v9, 16, v9
	v_lshlrev_b32_e32 v15, v15, v18
	v_lshl_or_b32 v2, v2, 9, 0x7c00
	v_cndmask_b32_e32 v11, 0x7c00, v11, vcc_lo
	v_cmp_ne_u32_e32 vcc_lo, 0, v8
	v_cndmask_b32_e64 v8, 0, 1, vcc_lo
	v_cmp_ne_u32_e32 vcc_lo, v15, v14
	v_add_nc_u32_e32 v15, 0xfffffc10, v19
	v_sub_nc_u32_e32 v19, 0x3f1, v22
	v_and_or_b32 v8, 0xffe, v21, v8
	v_cndmask_b32_e64 v14, 0, 1, vcc_lo
	v_cmp_eq_u32_e32 vcc_lo, 0x40f, v16
	v_and_or_b32 v6, 0x1ff, v7, v6
	v_bfe_u32 v21, v7, 20, 11
	v_or_b32_e32 v16, 0x1000, v8
	v_cndmask_b32_e32 v2, v11, v2, vcc_lo
	v_or_b32_e32 v11, v18, v14
	v_lshl_or_b32 v14, v15, 12, v0
	v_med3_i32 v18, v19, 0, 13
	v_cmp_gt_i32_e32 vcc_lo, 1, v15
	v_lshrrev_b32_e32 v19, 8, v7
	v_and_or_b32 v2, 0x8000, v3, v2
	v_cndmask_b32_e32 v11, v14, v11, vcc_lo
	v_lshrrev_b32_e32 v14, v18, v16
	v_cmp_ne_u32_e32 vcc_lo, 0, v6
	v_and_b32_e32 v2, 0xffff, v2
	v_and_b32_e32 v23, 7, v11
	v_lshlrev_b32_e32 v18, v18, v14
	v_cndmask_b32_e64 v6, 0, 1, vcc_lo
	v_lshrrev_b32_e32 v11, 2, v11
	v_cmp_lt_i32_e32 vcc_lo, 5, v23
	v_cmp_ne_u32_e64 s0, v18, v16
	v_and_or_b32 v3, 0xffe, v19, v6
	v_sub_nc_u32_e32 v6, 0x3f1, v21
	v_add_nc_u32_e32 v19, 0xfffffc10, v22
	v_cndmask_b32_e64 v16, 0, 1, s0
	v_cmp_eq_u32_e64 s0, 3, v23
	v_or_b32_e32 v18, 0x1000, v3
	v_med3_i32 v6, v6, 0, 13
	v_lshl_or_b32 v22, v19, 12, v8
	v_or_b32_e32 v14, v14, v16
	s_or_b32 vcc_lo, s0, vcc_lo
	v_add_co_ci_u32_e32 v11, vcc_lo, 0, v11, vcc_lo
	v_lshrrev_b32_e32 v16, v6, v18
	v_cmp_gt_i32_e32 vcc_lo, 1, v19
	v_lshlrev_b32_e32 v6, v6, v16
	v_cndmask_b32_e32 v14, v22, v14, vcc_lo
	v_cmp_ne_u32_e32 vcc_lo, 0, v0
	v_cndmask_b32_e64 v0, 0, 1, vcc_lo
	v_cmp_ne_u32_e32 vcc_lo, v6, v18
	v_add_nc_u32_e32 v18, 0xfffffc10, v21
	v_and_b32_e32 v21, 7, v14
	v_lshl_or_b32 v0, v0, 9, 0x7c00
	v_cndmask_b32_e64 v6, 0, 1, vcc_lo
	v_cmp_gt_i32_e32 vcc_lo, 31, v15
	v_cmp_gt_i32_e64 s1, 1, v18
	v_cmp_eq_u32_e64 s0, 3, v21
	v_or_b32_e32 v6, v16, v6
	v_lshl_or_b32 v16, v18, 12, v3
	v_cndmask_b32_e32 v11, 0x7c00, v11, vcc_lo
	v_cmp_lt_i32_e32 vcc_lo, 5, v21
	v_cndmask_b32_e64 v6, v16, v6, s1
	v_cmp_eq_u32_e64 s1, 0x40f, v15
	s_or_b32 vcc_lo, s0, vcc_lo
	v_cndmask_b32_e64 v0, v11, v0, s1
	v_lshrrev_b32_e32 v11, 2, v14
	v_and_b32_e32 v14, 7, v6
	v_lshrrev_b32_e32 v6, 2, v6
	v_cmp_gt_i32_e64 s1, 31, v19
	v_add_co_ci_u32_e32 v11, vcc_lo, 0, v11, vcc_lo
	v_cmp_ne_u32_e32 vcc_lo, 0, v8
	v_cmp_eq_u32_e64 s0, 3, v14
	v_cndmask_b32_e64 v11, 0x7c00, v11, s1
	v_cndmask_b32_e64 v8, 0, 1, vcc_lo
	v_cmp_lt_i32_e32 vcc_lo, 5, v14
	v_lshl_or_b32 v8, v8, 9, 0x7c00
	s_or_b32 vcc_lo, s0, vcc_lo
	v_add_co_ci_u32_e32 v6, vcc_lo, 0, v6, vcc_lo
	v_cmp_ne_u32_e32 vcc_lo, 0, v3
	v_cndmask_b32_e64 v3, 0, 1, vcc_lo
	v_cmp_eq_u32_e32 vcc_lo, 0x40f, v19
	v_lshl_or_b32 v3, v3, 9, 0x7c00
	v_cndmask_b32_e32 v8, v11, v8, vcc_lo
	v_cmp_gt_i32_e32 vcc_lo, 31, v18
	v_and_or_b32 v11, 0x8000, v1, v0
	v_and_or_b32 v8, 0x8000, v9, v8
	v_cndmask_b32_e32 v6, 0x7c00, v6, vcc_lo
	v_cmp_eq_u32_e32 vcc_lo, 0x40f, v18
	v_lshl_or_b32 v9, v11, 16, v2
	v_cndmask_b32_e32 v3, v6, v3, vcc_lo
	v_lshrrev_b32_e32 v6, 16, v7
	v_add_co_u32 v0, vcc_lo, v4, s19
	v_add_co_ci_u32_e32 v1, vcc_lo, s22, v5, vcc_lo
	v_and_or_b32 v6, 0x8000, v6, v3
	v_and_b32_e32 v7, 0xffff, v8
	v_add_co_u32 v2, vcc_lo, v0, s19
	v_add_co_ci_u32_e32 v3, vcc_lo, s22, v1, vcc_lo
	v_lshl_or_b32 v8, v6, 16, v7
	v_add_co_u32 v6, vcc_lo, v2, s19
	v_add_co_ci_u32_e32 v7, vcc_lo, s22, v3, vcc_lo
	global_store_dword v[12:13], v17, off
	global_store_dword v[4:5], v20, off
	;; [unrolled: 1-line block ×5, first 2 shown]
.LBB0_23:
	s_endpgm
	.section	.rodata,"a",@progbits
	.p2align	6, 0x0
	.amdhsa_kernel bluestein_single_back_len210_dim1_half_op_CI_CI
		.amdhsa_group_segment_fixed_size 1680
		.amdhsa_private_segment_fixed_size 0
		.amdhsa_kernarg_size 104
		.amdhsa_user_sgpr_count 6
		.amdhsa_user_sgpr_private_segment_buffer 1
		.amdhsa_user_sgpr_dispatch_ptr 0
		.amdhsa_user_sgpr_queue_ptr 0
		.amdhsa_user_sgpr_kernarg_segment_ptr 1
		.amdhsa_user_sgpr_dispatch_id 0
		.amdhsa_user_sgpr_flat_scratch_init 0
		.amdhsa_user_sgpr_private_segment_size 0
		.amdhsa_wavefront_size32 1
		.amdhsa_uses_dynamic_stack 0
		.amdhsa_system_sgpr_private_segment_wavefront_offset 0
		.amdhsa_system_sgpr_workgroup_id_x 1
		.amdhsa_system_sgpr_workgroup_id_y 0
		.amdhsa_system_sgpr_workgroup_id_z 0
		.amdhsa_system_sgpr_workgroup_info 0
		.amdhsa_system_vgpr_workitem_id 0
		.amdhsa_next_free_vgpr 91
		.amdhsa_next_free_sgpr 23
		.amdhsa_reserve_vcc 1
		.amdhsa_reserve_flat_scratch 0
		.amdhsa_float_round_mode_32 0
		.amdhsa_float_round_mode_16_64 0
		.amdhsa_float_denorm_mode_32 3
		.amdhsa_float_denorm_mode_16_64 3
		.amdhsa_dx10_clamp 1
		.amdhsa_ieee_mode 1
		.amdhsa_fp16_overflow 0
		.amdhsa_workgroup_processor_mode 1
		.amdhsa_memory_ordered 1
		.amdhsa_forward_progress 0
		.amdhsa_shared_vgpr_count 0
		.amdhsa_exception_fp_ieee_invalid_op 0
		.amdhsa_exception_fp_denorm_src 0
		.amdhsa_exception_fp_ieee_div_zero 0
		.amdhsa_exception_fp_ieee_overflow 0
		.amdhsa_exception_fp_ieee_underflow 0
		.amdhsa_exception_fp_ieee_inexact 0
		.amdhsa_exception_int_div_zero 0
	.end_amdhsa_kernel
	.text
.Lfunc_end0:
	.size	bluestein_single_back_len210_dim1_half_op_CI_CI, .Lfunc_end0-bluestein_single_back_len210_dim1_half_op_CI_CI
                                        ; -- End function
	.section	.AMDGPU.csdata,"",@progbits
; Kernel info:
; codeLenInByte = 13040
; NumSgprs: 25
; NumVgprs: 91
; ScratchSize: 0
; MemoryBound: 0
; FloatMode: 240
; IeeeMode: 1
; LDSByteSize: 1680 bytes/workgroup (compile time only)
; SGPRBlocks: 3
; VGPRBlocks: 11
; NumSGPRsForWavesPerEU: 25
; NumVGPRsForWavesPerEU: 91
; Occupancy: 10
; WaveLimiterHint : 1
; COMPUTE_PGM_RSRC2:SCRATCH_EN: 0
; COMPUTE_PGM_RSRC2:USER_SGPR: 6
; COMPUTE_PGM_RSRC2:TRAP_HANDLER: 0
; COMPUTE_PGM_RSRC2:TGID_X_EN: 1
; COMPUTE_PGM_RSRC2:TGID_Y_EN: 0
; COMPUTE_PGM_RSRC2:TGID_Z_EN: 0
; COMPUTE_PGM_RSRC2:TIDIG_COMP_CNT: 0
	.text
	.p2alignl 6, 3214868480
	.fill 48, 4, 3214868480
	.type	__hip_cuid_edd17b31f8cadd20,@object ; @__hip_cuid_edd17b31f8cadd20
	.section	.bss,"aw",@nobits
	.globl	__hip_cuid_edd17b31f8cadd20
__hip_cuid_edd17b31f8cadd20:
	.byte	0                               ; 0x0
	.size	__hip_cuid_edd17b31f8cadd20, 1

	.ident	"AMD clang version 19.0.0git (https://github.com/RadeonOpenCompute/llvm-project roc-6.4.0 25133 c7fe45cf4b819c5991fe208aaa96edf142730f1d)"
	.section	".note.GNU-stack","",@progbits
	.addrsig
	.addrsig_sym __hip_cuid_edd17b31f8cadd20
	.amdgpu_metadata
---
amdhsa.kernels:
  - .args:
      - .actual_access:  read_only
        .address_space:  global
        .offset:         0
        .size:           8
        .value_kind:     global_buffer
      - .actual_access:  read_only
        .address_space:  global
        .offset:         8
        .size:           8
        .value_kind:     global_buffer
      - .actual_access:  read_only
        .address_space:  global
        .offset:         16
        .size:           8
        .value_kind:     global_buffer
      - .actual_access:  read_only
        .address_space:  global
        .offset:         24
        .size:           8
        .value_kind:     global_buffer
      - .actual_access:  read_only
        .address_space:  global
        .offset:         32
        .size:           8
        .value_kind:     global_buffer
      - .offset:         40
        .size:           8
        .value_kind:     by_value
      - .address_space:  global
        .offset:         48
        .size:           8
        .value_kind:     global_buffer
      - .address_space:  global
        .offset:         56
        .size:           8
        .value_kind:     global_buffer
      - .address_space:  global
        .offset:         64
        .size:           8
        .value_kind:     global_buffer
      - .address_space:  global
        .offset:         72
        .size:           8
        .value_kind:     global_buffer
      - .offset:         80
        .size:           4
        .value_kind:     by_value
      - .address_space:  global
        .offset:         88
        .size:           8
        .value_kind:     global_buffer
      - .address_space:  global
        .offset:         96
        .size:           8
        .value_kind:     global_buffer
    .group_segment_fixed_size: 1680
    .kernarg_segment_align: 8
    .kernarg_segment_size: 104
    .language:       OpenCL C
    .language_version:
      - 2
      - 0
    .max_flat_workgroup_size: 60
    .name:           bluestein_single_back_len210_dim1_half_op_CI_CI
    .private_segment_fixed_size: 0
    .sgpr_count:     25
    .sgpr_spill_count: 0
    .symbol:         bluestein_single_back_len210_dim1_half_op_CI_CI.kd
    .uniform_work_group_size: 1
    .uses_dynamic_stack: false
    .vgpr_count:     91
    .vgpr_spill_count: 0
    .wavefront_size: 32
    .workgroup_processor_mode: 1
amdhsa.target:   amdgcn-amd-amdhsa--gfx1030
amdhsa.version:
  - 1
  - 2
...

	.end_amdgpu_metadata
